;; amdgpu-corpus repo=ROCm/hipCUB kind=compiled arch=gfx90a opt=O3
	.text
	.amdgcn_target "amdgcn-amd-amdhsa--gfx90a"
	.amdhsa_code_object_version 6
	.section	.text._Z6kernelI6offsetiLj256ELj1ELj100EEvPKT0_PS1_,"axG",@progbits,_Z6kernelI6offsetiLj256ELj1ELj100EEvPKT0_PS1_,comdat
	.protected	_Z6kernelI6offsetiLj256ELj1ELj100EEvPKT0_PS1_ ; -- Begin function _Z6kernelI6offsetiLj256ELj1ELj100EEvPKT0_PS1_
	.globl	_Z6kernelI6offsetiLj256ELj1ELj100EEvPKT0_PS1_
	.p2align	8
	.type	_Z6kernelI6offsetiLj256ELj1ELj100EEvPKT0_PS1_,@function
_Z6kernelI6offsetiLj256ELj1ELj100EEvPKT0_PS1_: ; @_Z6kernelI6offsetiLj256ELj1ELj100EEvPKT0_PS1_
; %bb.0:
	s_load_dwordx4 s[0:3], s[4:5], 0x0
	v_lshl_or_b32 v2, s6, 8, v0
	v_mov_b32_e32 v3, 0
	v_lshlrev_b64 v[2:3], 2, v[2:3]
	s_movk_i32 s4, 0x64
	s_waitcnt lgkmcnt(0)
	v_mov_b32_e32 v1, s1
	v_add_co_u32_e32 v4, vcc, s0, v2
	v_addc_co_u32_e32 v5, vcc, v1, v3, vcc
	global_load_dword v1, v[4:5], off
	s_movk_i32 s0, 0xff
	v_lshlrev_b32_e32 v4, 2, v0
	v_cmp_gt_u32_e32 vcc, s0, v0
	s_branch .LBB0_2
.LBB0_1:                                ;   in Loop: Header=BB0_2 Depth=1
	s_or_b64 exec, exec, s[0:1]
	s_add_i32 s4, s4, -1
	s_cmp_lg_u32 s4, 0
	s_waitcnt lgkmcnt(0)
	s_barrier
	s_cbranch_scc0 .LBB0_4
.LBB0_2:                                ; =>This Inner Loop Header: Depth=1
	s_waitcnt vmcnt(0)
	ds_write_b32 v4, v1
	s_waitcnt lgkmcnt(0)
	s_barrier
	s_and_saveexec_b64 s[0:1], vcc
	s_cbranch_execz .LBB0_1
; %bb.3:                                ;   in Loop: Header=BB0_2 Depth=1
	ds_read_b32 v1, v4 offset:4
	s_branch .LBB0_1
.LBB0_4:
	v_mov_b32_e32 v0, s3
	v_add_co_u32_e32 v2, vcc, s2, v2
	v_addc_co_u32_e32 v3, vcc, v0, v3, vcc
	global_store_dword v[2:3], v1, off
	s_endpgm
	.section	.rodata,"a",@progbits
	.p2align	6, 0x0
	.amdhsa_kernel _Z6kernelI6offsetiLj256ELj1ELj100EEvPKT0_PS1_
		.amdhsa_group_segment_fixed_size 1024
		.amdhsa_private_segment_fixed_size 0
		.amdhsa_kernarg_size 16
		.amdhsa_user_sgpr_count 6
		.amdhsa_user_sgpr_private_segment_buffer 1
		.amdhsa_user_sgpr_dispatch_ptr 0
		.amdhsa_user_sgpr_queue_ptr 0
		.amdhsa_user_sgpr_kernarg_segment_ptr 1
		.amdhsa_user_sgpr_dispatch_id 0
		.amdhsa_user_sgpr_flat_scratch_init 0
		.amdhsa_user_sgpr_kernarg_preload_length 0
		.amdhsa_user_sgpr_kernarg_preload_offset 0
		.amdhsa_user_sgpr_private_segment_size 0
		.amdhsa_uses_dynamic_stack 0
		.amdhsa_system_sgpr_private_segment_wavefront_offset 0
		.amdhsa_system_sgpr_workgroup_id_x 1
		.amdhsa_system_sgpr_workgroup_id_y 0
		.amdhsa_system_sgpr_workgroup_id_z 0
		.amdhsa_system_sgpr_workgroup_info 0
		.amdhsa_system_vgpr_workitem_id 0
		.amdhsa_next_free_vgpr 6
		.amdhsa_next_free_sgpr 7
		.amdhsa_accum_offset 8
		.amdhsa_reserve_vcc 1
		.amdhsa_reserve_flat_scratch 0
		.amdhsa_float_round_mode_32 0
		.amdhsa_float_round_mode_16_64 0
		.amdhsa_float_denorm_mode_32 3
		.amdhsa_float_denorm_mode_16_64 3
		.amdhsa_dx10_clamp 1
		.amdhsa_ieee_mode 1
		.amdhsa_fp16_overflow 0
		.amdhsa_tg_split 0
		.amdhsa_exception_fp_ieee_invalid_op 0
		.amdhsa_exception_fp_denorm_src 0
		.amdhsa_exception_fp_ieee_div_zero 0
		.amdhsa_exception_fp_ieee_overflow 0
		.amdhsa_exception_fp_ieee_underflow 0
		.amdhsa_exception_fp_ieee_inexact 0
		.amdhsa_exception_int_div_zero 0
	.end_amdhsa_kernel
	.section	.text._Z6kernelI6offsetiLj256ELj1ELj100EEvPKT0_PS1_,"axG",@progbits,_Z6kernelI6offsetiLj256ELj1ELj100EEvPKT0_PS1_,comdat
.Lfunc_end0:
	.size	_Z6kernelI6offsetiLj256ELj1ELj100EEvPKT0_PS1_, .Lfunc_end0-_Z6kernelI6offsetiLj256ELj1ELj100EEvPKT0_PS1_
                                        ; -- End function
	.section	.AMDGPU.csdata,"",@progbits
; Kernel info:
; codeLenInByte = 160
; NumSgprs: 11
; NumVgprs: 6
; NumAgprs: 0
; TotalNumVgprs: 6
; ScratchSize: 0
; MemoryBound: 0
; FloatMode: 240
; IeeeMode: 1
; LDSByteSize: 1024 bytes/workgroup (compile time only)
; SGPRBlocks: 1
; VGPRBlocks: 0
; NumSGPRsForWavesPerEU: 11
; NumVGPRsForWavesPerEU: 6
; AccumOffset: 8
; Occupancy: 8
; WaveLimiterHint : 0
; COMPUTE_PGM_RSRC2:SCRATCH_EN: 0
; COMPUTE_PGM_RSRC2:USER_SGPR: 6
; COMPUTE_PGM_RSRC2:TRAP_HANDLER: 0
; COMPUTE_PGM_RSRC2:TGID_X_EN: 1
; COMPUTE_PGM_RSRC2:TGID_Y_EN: 0
; COMPUTE_PGM_RSRC2:TGID_Z_EN: 0
; COMPUTE_PGM_RSRC2:TIDIG_COMP_CNT: 0
; COMPUTE_PGM_RSRC3_GFX90A:ACCUM_OFFSET: 1
; COMPUTE_PGM_RSRC3_GFX90A:TG_SPLIT: 0
	.section	.text._Z6kernelI6offsetfLj256ELj1ELj100EEvPKT0_PS1_,"axG",@progbits,_Z6kernelI6offsetfLj256ELj1ELj100EEvPKT0_PS1_,comdat
	.protected	_Z6kernelI6offsetfLj256ELj1ELj100EEvPKT0_PS1_ ; -- Begin function _Z6kernelI6offsetfLj256ELj1ELj100EEvPKT0_PS1_
	.globl	_Z6kernelI6offsetfLj256ELj1ELj100EEvPKT0_PS1_
	.p2align	8
	.type	_Z6kernelI6offsetfLj256ELj1ELj100EEvPKT0_PS1_,@function
_Z6kernelI6offsetfLj256ELj1ELj100EEvPKT0_PS1_: ; @_Z6kernelI6offsetfLj256ELj1ELj100EEvPKT0_PS1_
; %bb.0:
	s_load_dwordx4 s[0:3], s[4:5], 0x0
	v_lshl_or_b32 v2, s6, 8, v0
	v_mov_b32_e32 v3, 0
	v_lshlrev_b64 v[2:3], 2, v[2:3]
	s_movk_i32 s4, 0x64
	s_waitcnt lgkmcnt(0)
	v_mov_b32_e32 v1, s1
	v_add_co_u32_e32 v4, vcc, s0, v2
	v_addc_co_u32_e32 v5, vcc, v1, v3, vcc
	global_load_dword v1, v[4:5], off
	s_movk_i32 s0, 0xff
	v_lshlrev_b32_e32 v4, 2, v0
	v_cmp_gt_u32_e32 vcc, s0, v0
	s_branch .LBB1_2
.LBB1_1:                                ;   in Loop: Header=BB1_2 Depth=1
	s_or_b64 exec, exec, s[0:1]
	s_add_i32 s4, s4, -1
	s_cmp_lg_u32 s4, 0
	s_waitcnt lgkmcnt(0)
	s_barrier
	s_cbranch_scc0 .LBB1_4
.LBB1_2:                                ; =>This Inner Loop Header: Depth=1
	s_waitcnt vmcnt(0)
	ds_write_b32 v4, v1
	s_waitcnt lgkmcnt(0)
	s_barrier
	s_and_saveexec_b64 s[0:1], vcc
	s_cbranch_execz .LBB1_1
; %bb.3:                                ;   in Loop: Header=BB1_2 Depth=1
	ds_read_b32 v1, v4 offset:4
	s_branch .LBB1_1
.LBB1_4:
	v_mov_b32_e32 v0, s3
	v_add_co_u32_e32 v2, vcc, s2, v2
	v_addc_co_u32_e32 v3, vcc, v0, v3, vcc
	global_store_dword v[2:3], v1, off
	s_endpgm
	.section	.rodata,"a",@progbits
	.p2align	6, 0x0
	.amdhsa_kernel _Z6kernelI6offsetfLj256ELj1ELj100EEvPKT0_PS1_
		.amdhsa_group_segment_fixed_size 1024
		.amdhsa_private_segment_fixed_size 0
		.amdhsa_kernarg_size 16
		.amdhsa_user_sgpr_count 6
		.amdhsa_user_sgpr_private_segment_buffer 1
		.amdhsa_user_sgpr_dispatch_ptr 0
		.amdhsa_user_sgpr_queue_ptr 0
		.amdhsa_user_sgpr_kernarg_segment_ptr 1
		.amdhsa_user_sgpr_dispatch_id 0
		.amdhsa_user_sgpr_flat_scratch_init 0
		.amdhsa_user_sgpr_kernarg_preload_length 0
		.amdhsa_user_sgpr_kernarg_preload_offset 0
		.amdhsa_user_sgpr_private_segment_size 0
		.amdhsa_uses_dynamic_stack 0
		.amdhsa_system_sgpr_private_segment_wavefront_offset 0
		.amdhsa_system_sgpr_workgroup_id_x 1
		.amdhsa_system_sgpr_workgroup_id_y 0
		.amdhsa_system_sgpr_workgroup_id_z 0
		.amdhsa_system_sgpr_workgroup_info 0
		.amdhsa_system_vgpr_workitem_id 0
		.amdhsa_next_free_vgpr 6
		.amdhsa_next_free_sgpr 7
		.amdhsa_accum_offset 8
		.amdhsa_reserve_vcc 1
		.amdhsa_reserve_flat_scratch 0
		.amdhsa_float_round_mode_32 0
		.amdhsa_float_round_mode_16_64 0
		.amdhsa_float_denorm_mode_32 3
		.amdhsa_float_denorm_mode_16_64 3
		.amdhsa_dx10_clamp 1
		.amdhsa_ieee_mode 1
		.amdhsa_fp16_overflow 0
		.amdhsa_tg_split 0
		.amdhsa_exception_fp_ieee_invalid_op 0
		.amdhsa_exception_fp_denorm_src 0
		.amdhsa_exception_fp_ieee_div_zero 0
		.amdhsa_exception_fp_ieee_overflow 0
		.amdhsa_exception_fp_ieee_underflow 0
		.amdhsa_exception_fp_ieee_inexact 0
		.amdhsa_exception_int_div_zero 0
	.end_amdhsa_kernel
	.section	.text._Z6kernelI6offsetfLj256ELj1ELj100EEvPKT0_PS1_,"axG",@progbits,_Z6kernelI6offsetfLj256ELj1ELj100EEvPKT0_PS1_,comdat
.Lfunc_end1:
	.size	_Z6kernelI6offsetfLj256ELj1ELj100EEvPKT0_PS1_, .Lfunc_end1-_Z6kernelI6offsetfLj256ELj1ELj100EEvPKT0_PS1_
                                        ; -- End function
	.section	.AMDGPU.csdata,"",@progbits
; Kernel info:
; codeLenInByte = 160
; NumSgprs: 11
; NumVgprs: 6
; NumAgprs: 0
; TotalNumVgprs: 6
; ScratchSize: 0
; MemoryBound: 0
; FloatMode: 240
; IeeeMode: 1
; LDSByteSize: 1024 bytes/workgroup (compile time only)
; SGPRBlocks: 1
; VGPRBlocks: 0
; NumSGPRsForWavesPerEU: 11
; NumVGPRsForWavesPerEU: 6
; AccumOffset: 8
; Occupancy: 8
; WaveLimiterHint : 0
; COMPUTE_PGM_RSRC2:SCRATCH_EN: 0
; COMPUTE_PGM_RSRC2:USER_SGPR: 6
; COMPUTE_PGM_RSRC2:TRAP_HANDLER: 0
; COMPUTE_PGM_RSRC2:TGID_X_EN: 1
; COMPUTE_PGM_RSRC2:TGID_Y_EN: 0
; COMPUTE_PGM_RSRC2:TGID_Z_EN: 0
; COMPUTE_PGM_RSRC2:TIDIG_COMP_CNT: 0
; COMPUTE_PGM_RSRC3_GFX90A:ACCUM_OFFSET: 1
; COMPUTE_PGM_RSRC3_GFX90A:TG_SPLIT: 0
	.section	.text._Z6kernelI6offsetdLj256ELj1ELj100EEvPKT0_PS1_,"axG",@progbits,_Z6kernelI6offsetdLj256ELj1ELj100EEvPKT0_PS1_,comdat
	.protected	_Z6kernelI6offsetdLj256ELj1ELj100EEvPKT0_PS1_ ; -- Begin function _Z6kernelI6offsetdLj256ELj1ELj100EEvPKT0_PS1_
	.globl	_Z6kernelI6offsetdLj256ELj1ELj100EEvPKT0_PS1_
	.p2align	8
	.type	_Z6kernelI6offsetdLj256ELj1ELj100EEvPKT0_PS1_,@function
_Z6kernelI6offsetdLj256ELj1ELj100EEvPKT0_PS1_: ; @_Z6kernelI6offsetdLj256ELj1ELj100EEvPKT0_PS1_
; %bb.0:
	s_load_dwordx4 s[0:3], s[4:5], 0x0
	v_lshl_or_b32 v2, s6, 8, v0
	v_mov_b32_e32 v3, 0
	v_lshlrev_b64 v[2:3], 3, v[2:3]
	s_movk_i32 s4, 0x64
	s_waitcnt lgkmcnt(0)
	v_mov_b32_e32 v1, s1
	v_add_co_u32_e32 v4, vcc, s0, v2
	v_addc_co_u32_e32 v5, vcc, v1, v3, vcc
	global_load_dwordx2 v[4:5], v[4:5], off
	s_movk_i32 s0, 0xff
	v_lshlrev_b32_e32 v1, 3, v0
	v_cmp_gt_u32_e32 vcc, s0, v0
	s_branch .LBB2_2
.LBB2_1:                                ;   in Loop: Header=BB2_2 Depth=1
	s_or_b64 exec, exec, s[0:1]
	s_add_i32 s4, s4, -1
	s_cmp_lg_u32 s4, 0
	s_waitcnt lgkmcnt(0)
	s_barrier
	s_cbranch_scc0 .LBB2_4
.LBB2_2:                                ; =>This Inner Loop Header: Depth=1
	s_waitcnt vmcnt(0)
	ds_write_b64 v1, v[4:5]
	s_waitcnt lgkmcnt(0)
	s_barrier
	s_and_saveexec_b64 s[0:1], vcc
	s_cbranch_execz .LBB2_1
; %bb.3:                                ;   in Loop: Header=BB2_2 Depth=1
	ds_read_b64 v[4:5], v1 offset:8
	s_branch .LBB2_1
.LBB2_4:
	v_mov_b32_e32 v1, s3
	v_add_co_u32_e32 v0, vcc, s2, v2
	v_addc_co_u32_e32 v1, vcc, v1, v3, vcc
	global_store_dwordx2 v[0:1], v[4:5], off
	s_endpgm
	.section	.rodata,"a",@progbits
	.p2align	6, 0x0
	.amdhsa_kernel _Z6kernelI6offsetdLj256ELj1ELj100EEvPKT0_PS1_
		.amdhsa_group_segment_fixed_size 2048
		.amdhsa_private_segment_fixed_size 0
		.amdhsa_kernarg_size 16
		.amdhsa_user_sgpr_count 6
		.amdhsa_user_sgpr_private_segment_buffer 1
		.amdhsa_user_sgpr_dispatch_ptr 0
		.amdhsa_user_sgpr_queue_ptr 0
		.amdhsa_user_sgpr_kernarg_segment_ptr 1
		.amdhsa_user_sgpr_dispatch_id 0
		.amdhsa_user_sgpr_flat_scratch_init 0
		.amdhsa_user_sgpr_kernarg_preload_length 0
		.amdhsa_user_sgpr_kernarg_preload_offset 0
		.amdhsa_user_sgpr_private_segment_size 0
		.amdhsa_uses_dynamic_stack 0
		.amdhsa_system_sgpr_private_segment_wavefront_offset 0
		.amdhsa_system_sgpr_workgroup_id_x 1
		.amdhsa_system_sgpr_workgroup_id_y 0
		.amdhsa_system_sgpr_workgroup_id_z 0
		.amdhsa_system_sgpr_workgroup_info 0
		.amdhsa_system_vgpr_workitem_id 0
		.amdhsa_next_free_vgpr 6
		.amdhsa_next_free_sgpr 7
		.amdhsa_accum_offset 8
		.amdhsa_reserve_vcc 1
		.amdhsa_reserve_flat_scratch 0
		.amdhsa_float_round_mode_32 0
		.amdhsa_float_round_mode_16_64 0
		.amdhsa_float_denorm_mode_32 3
		.amdhsa_float_denorm_mode_16_64 3
		.amdhsa_dx10_clamp 1
		.amdhsa_ieee_mode 1
		.amdhsa_fp16_overflow 0
		.amdhsa_tg_split 0
		.amdhsa_exception_fp_ieee_invalid_op 0
		.amdhsa_exception_fp_denorm_src 0
		.amdhsa_exception_fp_ieee_div_zero 0
		.amdhsa_exception_fp_ieee_overflow 0
		.amdhsa_exception_fp_ieee_underflow 0
		.amdhsa_exception_fp_ieee_inexact 0
		.amdhsa_exception_int_div_zero 0
	.end_amdhsa_kernel
	.section	.text._Z6kernelI6offsetdLj256ELj1ELj100EEvPKT0_PS1_,"axG",@progbits,_Z6kernelI6offsetdLj256ELj1ELj100EEvPKT0_PS1_,comdat
.Lfunc_end2:
	.size	_Z6kernelI6offsetdLj256ELj1ELj100EEvPKT0_PS1_, .Lfunc_end2-_Z6kernelI6offsetdLj256ELj1ELj100EEvPKT0_PS1_
                                        ; -- End function
	.section	.AMDGPU.csdata,"",@progbits
; Kernel info:
; codeLenInByte = 160
; NumSgprs: 11
; NumVgprs: 6
; NumAgprs: 0
; TotalNumVgprs: 6
; ScratchSize: 0
; MemoryBound: 0
; FloatMode: 240
; IeeeMode: 1
; LDSByteSize: 2048 bytes/workgroup (compile time only)
; SGPRBlocks: 1
; VGPRBlocks: 0
; NumSGPRsForWavesPerEU: 11
; NumVGPRsForWavesPerEU: 6
; AccumOffset: 8
; Occupancy: 8
; WaveLimiterHint : 0
; COMPUTE_PGM_RSRC2:SCRATCH_EN: 0
; COMPUTE_PGM_RSRC2:USER_SGPR: 6
; COMPUTE_PGM_RSRC2:TRAP_HANDLER: 0
; COMPUTE_PGM_RSRC2:TGID_X_EN: 1
; COMPUTE_PGM_RSRC2:TGID_Y_EN: 0
; COMPUTE_PGM_RSRC2:TGID_Z_EN: 0
; COMPUTE_PGM_RSRC2:TIDIG_COMP_CNT: 0
; COMPUTE_PGM_RSRC3_GFX90A:ACCUM_OFFSET: 1
; COMPUTE_PGM_RSRC3_GFX90A:TG_SPLIT: 0
	.section	.text._Z6kernelI6offsetaLj256ELj1ELj100EEvPKT0_PS1_,"axG",@progbits,_Z6kernelI6offsetaLj256ELj1ELj100EEvPKT0_PS1_,comdat
	.protected	_Z6kernelI6offsetaLj256ELj1ELj100EEvPKT0_PS1_ ; -- Begin function _Z6kernelI6offsetaLj256ELj1ELj100EEvPKT0_PS1_
	.globl	_Z6kernelI6offsetaLj256ELj1ELj100EEvPKT0_PS1_
	.p2align	8
	.type	_Z6kernelI6offsetaLj256ELj1ELj100EEvPKT0_PS1_,@function
_Z6kernelI6offsetaLj256ELj1ELj100EEvPKT0_PS1_: ; @_Z6kernelI6offsetaLj256ELj1ELj100EEvPKT0_PS1_
; %bb.0:
	s_load_dwordx4 s[0:3], s[4:5], 0x0
	v_lshl_or_b32 v2, s6, 8, v0
	s_movk_i32 s4, 0x64
	s_waitcnt lgkmcnt(0)
	global_load_ubyte v1, v2, s[0:1]
	s_movk_i32 s0, 0xff
	v_cmp_gt_u32_e32 vcc, s0, v0
	s_branch .LBB3_2
.LBB3_1:                                ;   in Loop: Header=BB3_2 Depth=1
	s_or_b64 exec, exec, s[0:1]
	s_add_i32 s4, s4, -1
	s_cmp_lg_u32 s4, 0
	s_waitcnt lgkmcnt(0)
	s_barrier
	s_cbranch_scc0 .LBB3_4
.LBB3_2:                                ; =>This Inner Loop Header: Depth=1
	s_waitcnt vmcnt(0)
	ds_write_b8 v0, v1
	s_waitcnt lgkmcnt(0)
	s_barrier
	s_and_saveexec_b64 s[0:1], vcc
	s_cbranch_execz .LBB3_1
; %bb.3:                                ;   in Loop: Header=BB3_2 Depth=1
	ds_read_u8 v1, v0 offset:1
	s_branch .LBB3_1
.LBB3_4:
	v_mov_b32_e32 v0, s3
	v_add_co_u32_e32 v2, vcc, s2, v2
	v_addc_co_u32_e32 v3, vcc, 0, v0, vcc
	global_store_byte v[2:3], v1, off
	s_endpgm
	.section	.rodata,"a",@progbits
	.p2align	6, 0x0
	.amdhsa_kernel _Z6kernelI6offsetaLj256ELj1ELj100EEvPKT0_PS1_
		.amdhsa_group_segment_fixed_size 256
		.amdhsa_private_segment_fixed_size 0
		.amdhsa_kernarg_size 16
		.amdhsa_user_sgpr_count 6
		.amdhsa_user_sgpr_private_segment_buffer 1
		.amdhsa_user_sgpr_dispatch_ptr 0
		.amdhsa_user_sgpr_queue_ptr 0
		.amdhsa_user_sgpr_kernarg_segment_ptr 1
		.amdhsa_user_sgpr_dispatch_id 0
		.amdhsa_user_sgpr_flat_scratch_init 0
		.amdhsa_user_sgpr_kernarg_preload_length 0
		.amdhsa_user_sgpr_kernarg_preload_offset 0
		.amdhsa_user_sgpr_private_segment_size 0
		.amdhsa_uses_dynamic_stack 0
		.amdhsa_system_sgpr_private_segment_wavefront_offset 0
		.amdhsa_system_sgpr_workgroup_id_x 1
		.amdhsa_system_sgpr_workgroup_id_y 0
		.amdhsa_system_sgpr_workgroup_id_z 0
		.amdhsa_system_sgpr_workgroup_info 0
		.amdhsa_system_vgpr_workitem_id 0
		.amdhsa_next_free_vgpr 4
		.amdhsa_next_free_sgpr 7
		.amdhsa_accum_offset 4
		.amdhsa_reserve_vcc 1
		.amdhsa_reserve_flat_scratch 0
		.amdhsa_float_round_mode_32 0
		.amdhsa_float_round_mode_16_64 0
		.amdhsa_float_denorm_mode_32 3
		.amdhsa_float_denorm_mode_16_64 3
		.amdhsa_dx10_clamp 1
		.amdhsa_ieee_mode 1
		.amdhsa_fp16_overflow 0
		.amdhsa_tg_split 0
		.amdhsa_exception_fp_ieee_invalid_op 0
		.amdhsa_exception_fp_denorm_src 0
		.amdhsa_exception_fp_ieee_div_zero 0
		.amdhsa_exception_fp_ieee_overflow 0
		.amdhsa_exception_fp_ieee_underflow 0
		.amdhsa_exception_fp_ieee_inexact 0
		.amdhsa_exception_int_div_zero 0
	.end_amdhsa_kernel
	.section	.text._Z6kernelI6offsetaLj256ELj1ELj100EEvPKT0_PS1_,"axG",@progbits,_Z6kernelI6offsetaLj256ELj1ELj100EEvPKT0_PS1_,comdat
.Lfunc_end3:
	.size	_Z6kernelI6offsetaLj256ELj1ELj100EEvPKT0_PS1_, .Lfunc_end3-_Z6kernelI6offsetaLj256ELj1ELj100EEvPKT0_PS1_
                                        ; -- End function
	.section	.AMDGPU.csdata,"",@progbits
; Kernel info:
; codeLenInByte = 132
; NumSgprs: 11
; NumVgprs: 4
; NumAgprs: 0
; TotalNumVgprs: 4
; ScratchSize: 0
; MemoryBound: 0
; FloatMode: 240
; IeeeMode: 1
; LDSByteSize: 256 bytes/workgroup (compile time only)
; SGPRBlocks: 1
; VGPRBlocks: 0
; NumSGPRsForWavesPerEU: 11
; NumVGPRsForWavesPerEU: 4
; AccumOffset: 4
; Occupancy: 8
; WaveLimiterHint : 0
; COMPUTE_PGM_RSRC2:SCRATCH_EN: 0
; COMPUTE_PGM_RSRC2:USER_SGPR: 6
; COMPUTE_PGM_RSRC2:TRAP_HANDLER: 0
; COMPUTE_PGM_RSRC2:TGID_X_EN: 1
; COMPUTE_PGM_RSRC2:TGID_Y_EN: 0
; COMPUTE_PGM_RSRC2:TGID_Z_EN: 0
; COMPUTE_PGM_RSRC2:TIDIG_COMP_CNT: 0
; COMPUTE_PGM_RSRC3_GFX90A:ACCUM_OFFSET: 0
; COMPUTE_PGM_RSRC3_GFX90A:TG_SPLIT: 0
	.section	.text._Z6kernelI6offsetxLj256ELj1ELj100EEvPKT0_PS1_,"axG",@progbits,_Z6kernelI6offsetxLj256ELj1ELj100EEvPKT0_PS1_,comdat
	.protected	_Z6kernelI6offsetxLj256ELj1ELj100EEvPKT0_PS1_ ; -- Begin function _Z6kernelI6offsetxLj256ELj1ELj100EEvPKT0_PS1_
	.globl	_Z6kernelI6offsetxLj256ELj1ELj100EEvPKT0_PS1_
	.p2align	8
	.type	_Z6kernelI6offsetxLj256ELj1ELj100EEvPKT0_PS1_,@function
_Z6kernelI6offsetxLj256ELj1ELj100EEvPKT0_PS1_: ; @_Z6kernelI6offsetxLj256ELj1ELj100EEvPKT0_PS1_
; %bb.0:
	s_load_dwordx4 s[0:3], s[4:5], 0x0
	v_lshl_or_b32 v2, s6, 8, v0
	v_mov_b32_e32 v3, 0
	v_lshlrev_b64 v[2:3], 3, v[2:3]
	s_movk_i32 s4, 0x64
	s_waitcnt lgkmcnt(0)
	v_mov_b32_e32 v1, s1
	v_add_co_u32_e32 v4, vcc, s0, v2
	v_addc_co_u32_e32 v5, vcc, v1, v3, vcc
	global_load_dwordx2 v[4:5], v[4:5], off
	s_movk_i32 s0, 0xff
	v_lshlrev_b32_e32 v1, 3, v0
	v_cmp_gt_u32_e32 vcc, s0, v0
	s_branch .LBB4_2
.LBB4_1:                                ;   in Loop: Header=BB4_2 Depth=1
	s_or_b64 exec, exec, s[0:1]
	s_add_i32 s4, s4, -1
	s_cmp_lg_u32 s4, 0
	s_waitcnt lgkmcnt(0)
	s_barrier
	s_cbranch_scc0 .LBB4_4
.LBB4_2:                                ; =>This Inner Loop Header: Depth=1
	s_waitcnt vmcnt(0)
	ds_write_b64 v1, v[4:5]
	s_waitcnt lgkmcnt(0)
	s_barrier
	s_and_saveexec_b64 s[0:1], vcc
	s_cbranch_execz .LBB4_1
; %bb.3:                                ;   in Loop: Header=BB4_2 Depth=1
	ds_read_b64 v[4:5], v1 offset:8
	s_branch .LBB4_1
.LBB4_4:
	v_mov_b32_e32 v1, s3
	v_add_co_u32_e32 v0, vcc, s2, v2
	v_addc_co_u32_e32 v1, vcc, v1, v3, vcc
	global_store_dwordx2 v[0:1], v[4:5], off
	s_endpgm
	.section	.rodata,"a",@progbits
	.p2align	6, 0x0
	.amdhsa_kernel _Z6kernelI6offsetxLj256ELj1ELj100EEvPKT0_PS1_
		.amdhsa_group_segment_fixed_size 2048
		.amdhsa_private_segment_fixed_size 0
		.amdhsa_kernarg_size 16
		.amdhsa_user_sgpr_count 6
		.amdhsa_user_sgpr_private_segment_buffer 1
		.amdhsa_user_sgpr_dispatch_ptr 0
		.amdhsa_user_sgpr_queue_ptr 0
		.amdhsa_user_sgpr_kernarg_segment_ptr 1
		.amdhsa_user_sgpr_dispatch_id 0
		.amdhsa_user_sgpr_flat_scratch_init 0
		.amdhsa_user_sgpr_kernarg_preload_length 0
		.amdhsa_user_sgpr_kernarg_preload_offset 0
		.amdhsa_user_sgpr_private_segment_size 0
		.amdhsa_uses_dynamic_stack 0
		.amdhsa_system_sgpr_private_segment_wavefront_offset 0
		.amdhsa_system_sgpr_workgroup_id_x 1
		.amdhsa_system_sgpr_workgroup_id_y 0
		.amdhsa_system_sgpr_workgroup_id_z 0
		.amdhsa_system_sgpr_workgroup_info 0
		.amdhsa_system_vgpr_workitem_id 0
		.amdhsa_next_free_vgpr 6
		.amdhsa_next_free_sgpr 7
		.amdhsa_accum_offset 8
		.amdhsa_reserve_vcc 1
		.amdhsa_reserve_flat_scratch 0
		.amdhsa_float_round_mode_32 0
		.amdhsa_float_round_mode_16_64 0
		.amdhsa_float_denorm_mode_32 3
		.amdhsa_float_denorm_mode_16_64 3
		.amdhsa_dx10_clamp 1
		.amdhsa_ieee_mode 1
		.amdhsa_fp16_overflow 0
		.amdhsa_tg_split 0
		.amdhsa_exception_fp_ieee_invalid_op 0
		.amdhsa_exception_fp_denorm_src 0
		.amdhsa_exception_fp_ieee_div_zero 0
		.amdhsa_exception_fp_ieee_overflow 0
		.amdhsa_exception_fp_ieee_underflow 0
		.amdhsa_exception_fp_ieee_inexact 0
		.amdhsa_exception_int_div_zero 0
	.end_amdhsa_kernel
	.section	.text._Z6kernelI6offsetxLj256ELj1ELj100EEvPKT0_PS1_,"axG",@progbits,_Z6kernelI6offsetxLj256ELj1ELj100EEvPKT0_PS1_,comdat
.Lfunc_end4:
	.size	_Z6kernelI6offsetxLj256ELj1ELj100EEvPKT0_PS1_, .Lfunc_end4-_Z6kernelI6offsetxLj256ELj1ELj100EEvPKT0_PS1_
                                        ; -- End function
	.section	.AMDGPU.csdata,"",@progbits
; Kernel info:
; codeLenInByte = 160
; NumSgprs: 11
; NumVgprs: 6
; NumAgprs: 0
; TotalNumVgprs: 6
; ScratchSize: 0
; MemoryBound: 0
; FloatMode: 240
; IeeeMode: 1
; LDSByteSize: 2048 bytes/workgroup (compile time only)
; SGPRBlocks: 1
; VGPRBlocks: 0
; NumSGPRsForWavesPerEU: 11
; NumVGPRsForWavesPerEU: 6
; AccumOffset: 8
; Occupancy: 8
; WaveLimiterHint : 0
; COMPUTE_PGM_RSRC2:SCRATCH_EN: 0
; COMPUTE_PGM_RSRC2:USER_SGPR: 6
; COMPUTE_PGM_RSRC2:TRAP_HANDLER: 0
; COMPUTE_PGM_RSRC2:TGID_X_EN: 1
; COMPUTE_PGM_RSRC2:TGID_Y_EN: 0
; COMPUTE_PGM_RSRC2:TGID_Z_EN: 0
; COMPUTE_PGM_RSRC2:TIDIG_COMP_CNT: 0
; COMPUTE_PGM_RSRC3_GFX90A:ACCUM_OFFSET: 1
; COMPUTE_PGM_RSRC3_GFX90A:TG_SPLIT: 0
	.section	.text._Z6kernelI6offsetN15benchmark_utils11custom_typeIffEELj256ELj1ELj100EEvPKT0_PS4_,"axG",@progbits,_Z6kernelI6offsetN15benchmark_utils11custom_typeIffEELj256ELj1ELj100EEvPKT0_PS4_,comdat
	.protected	_Z6kernelI6offsetN15benchmark_utils11custom_typeIffEELj256ELj1ELj100EEvPKT0_PS4_ ; -- Begin function _Z6kernelI6offsetN15benchmark_utils11custom_typeIffEELj256ELj1ELj100EEvPKT0_PS4_
	.globl	_Z6kernelI6offsetN15benchmark_utils11custom_typeIffEELj256ELj1ELj100EEvPKT0_PS4_
	.p2align	8
	.type	_Z6kernelI6offsetN15benchmark_utils11custom_typeIffEELj256ELj1ELj100EEvPKT0_PS4_,@function
_Z6kernelI6offsetN15benchmark_utils11custom_typeIffEELj256ELj1ELj100EEvPKT0_PS4_: ; @_Z6kernelI6offsetN15benchmark_utils11custom_typeIffEELj256ELj1ELj100EEvPKT0_PS4_
; %bb.0:
	s_load_dwordx4 s[0:3], s[4:5], 0x0
	v_lshl_or_b32 v2, s6, 8, v0
	v_mov_b32_e32 v3, 0
	v_lshlrev_b64 v[2:3], 3, v[2:3]
	s_movk_i32 s4, 0x64
	s_waitcnt lgkmcnt(0)
	v_mov_b32_e32 v1, s1
	v_add_co_u32_e32 v4, vcc, s0, v2
	v_addc_co_u32_e32 v5, vcc, v1, v3, vcc
	global_load_dwordx2 v[4:5], v[4:5], off
	s_movk_i32 s0, 0xff
	v_lshlrev_b32_e32 v1, 3, v0
	v_cmp_gt_u32_e32 vcc, s0, v0
	s_branch .LBB5_2
.LBB5_1:                                ;   in Loop: Header=BB5_2 Depth=1
	s_or_b64 exec, exec, s[0:1]
	s_add_i32 s4, s4, -1
	s_cmp_lg_u32 s4, 0
	s_waitcnt lgkmcnt(0)
	s_barrier
	s_cbranch_scc0 .LBB5_4
.LBB5_2:                                ; =>This Inner Loop Header: Depth=1
	s_waitcnt vmcnt(0)
	ds_write2_b32 v1, v4, v5 offset1:1
	s_waitcnt lgkmcnt(0)
	s_barrier
	s_and_saveexec_b64 s[0:1], vcc
	s_cbranch_execz .LBB5_1
; %bb.3:                                ;   in Loop: Header=BB5_2 Depth=1
	ds_read2_b32 v[4:5], v1 offset0:2 offset1:3
	s_branch .LBB5_1
.LBB5_4:
	v_mov_b32_e32 v1, s3
	v_add_co_u32_e32 v0, vcc, s2, v2
	v_addc_co_u32_e32 v1, vcc, v1, v3, vcc
	global_store_dwordx2 v[0:1], v[4:5], off
	s_endpgm
	.section	.rodata,"a",@progbits
	.p2align	6, 0x0
	.amdhsa_kernel _Z6kernelI6offsetN15benchmark_utils11custom_typeIffEELj256ELj1ELj100EEvPKT0_PS4_
		.amdhsa_group_segment_fixed_size 2048
		.amdhsa_private_segment_fixed_size 0
		.amdhsa_kernarg_size 16
		.amdhsa_user_sgpr_count 6
		.amdhsa_user_sgpr_private_segment_buffer 1
		.amdhsa_user_sgpr_dispatch_ptr 0
		.amdhsa_user_sgpr_queue_ptr 0
		.amdhsa_user_sgpr_kernarg_segment_ptr 1
		.amdhsa_user_sgpr_dispatch_id 0
		.amdhsa_user_sgpr_flat_scratch_init 0
		.amdhsa_user_sgpr_kernarg_preload_length 0
		.amdhsa_user_sgpr_kernarg_preload_offset 0
		.amdhsa_user_sgpr_private_segment_size 0
		.amdhsa_uses_dynamic_stack 0
		.amdhsa_system_sgpr_private_segment_wavefront_offset 0
		.amdhsa_system_sgpr_workgroup_id_x 1
		.amdhsa_system_sgpr_workgroup_id_y 0
		.amdhsa_system_sgpr_workgroup_id_z 0
		.amdhsa_system_sgpr_workgroup_info 0
		.amdhsa_system_vgpr_workitem_id 0
		.amdhsa_next_free_vgpr 6
		.amdhsa_next_free_sgpr 7
		.amdhsa_accum_offset 8
		.amdhsa_reserve_vcc 1
		.amdhsa_reserve_flat_scratch 0
		.amdhsa_float_round_mode_32 0
		.amdhsa_float_round_mode_16_64 0
		.amdhsa_float_denorm_mode_32 3
		.amdhsa_float_denorm_mode_16_64 3
		.amdhsa_dx10_clamp 1
		.amdhsa_ieee_mode 1
		.amdhsa_fp16_overflow 0
		.amdhsa_tg_split 0
		.amdhsa_exception_fp_ieee_invalid_op 0
		.amdhsa_exception_fp_denorm_src 0
		.amdhsa_exception_fp_ieee_div_zero 0
		.amdhsa_exception_fp_ieee_overflow 0
		.amdhsa_exception_fp_ieee_underflow 0
		.amdhsa_exception_fp_ieee_inexact 0
		.amdhsa_exception_int_div_zero 0
	.end_amdhsa_kernel
	.section	.text._Z6kernelI6offsetN15benchmark_utils11custom_typeIffEELj256ELj1ELj100EEvPKT0_PS4_,"axG",@progbits,_Z6kernelI6offsetN15benchmark_utils11custom_typeIffEELj256ELj1ELj100EEvPKT0_PS4_,comdat
.Lfunc_end5:
	.size	_Z6kernelI6offsetN15benchmark_utils11custom_typeIffEELj256ELj1ELj100EEvPKT0_PS4_, .Lfunc_end5-_Z6kernelI6offsetN15benchmark_utils11custom_typeIffEELj256ELj1ELj100EEvPKT0_PS4_
                                        ; -- End function
	.section	.AMDGPU.csdata,"",@progbits
; Kernel info:
; codeLenInByte = 160
; NumSgprs: 11
; NumVgprs: 6
; NumAgprs: 0
; TotalNumVgprs: 6
; ScratchSize: 0
; MemoryBound: 0
; FloatMode: 240
; IeeeMode: 1
; LDSByteSize: 2048 bytes/workgroup (compile time only)
; SGPRBlocks: 1
; VGPRBlocks: 0
; NumSGPRsForWavesPerEU: 11
; NumVGPRsForWavesPerEU: 6
; AccumOffset: 8
; Occupancy: 8
; WaveLimiterHint : 0
; COMPUTE_PGM_RSRC2:SCRATCH_EN: 0
; COMPUTE_PGM_RSRC2:USER_SGPR: 6
; COMPUTE_PGM_RSRC2:TRAP_HANDLER: 0
; COMPUTE_PGM_RSRC2:TGID_X_EN: 1
; COMPUTE_PGM_RSRC2:TGID_Y_EN: 0
; COMPUTE_PGM_RSRC2:TGID_Z_EN: 0
; COMPUTE_PGM_RSRC2:TIDIG_COMP_CNT: 0
; COMPUTE_PGM_RSRC3_GFX90A:ACCUM_OFFSET: 1
; COMPUTE_PGM_RSRC3_GFX90A:TG_SPLIT: 0
	.section	.text._Z6kernelI6offsetN15benchmark_utils11custom_typeIddEELj256ELj1ELj100EEvPKT0_PS4_,"axG",@progbits,_Z6kernelI6offsetN15benchmark_utils11custom_typeIddEELj256ELj1ELj100EEvPKT0_PS4_,comdat
	.protected	_Z6kernelI6offsetN15benchmark_utils11custom_typeIddEELj256ELj1ELj100EEvPKT0_PS4_ ; -- Begin function _Z6kernelI6offsetN15benchmark_utils11custom_typeIddEELj256ELj1ELj100EEvPKT0_PS4_
	.globl	_Z6kernelI6offsetN15benchmark_utils11custom_typeIddEELj256ELj1ELj100EEvPKT0_PS4_
	.p2align	8
	.type	_Z6kernelI6offsetN15benchmark_utils11custom_typeIddEELj256ELj1ELj100EEvPKT0_PS4_,@function
_Z6kernelI6offsetN15benchmark_utils11custom_typeIddEELj256ELj1ELj100EEvPKT0_PS4_: ; @_Z6kernelI6offsetN15benchmark_utils11custom_typeIddEELj256ELj1ELj100EEvPKT0_PS4_
; %bb.0:
	s_load_dwordx4 s[0:3], s[4:5], 0x0
	v_lshl_or_b32 v2, s6, 8, v0
	v_mov_b32_e32 v3, 0
	v_lshlrev_b64 v[6:7], 4, v[2:3]
	s_movk_i32 s4, 0x64
	s_waitcnt lgkmcnt(0)
	v_mov_b32_e32 v1, s1
	v_add_co_u32_e32 v2, vcc, s0, v6
	v_addc_co_u32_e32 v3, vcc, v1, v7, vcc
	global_load_dwordx4 v[2:5], v[2:3], off
	s_movk_i32 s0, 0xff
	v_lshlrev_b32_e32 v1, 4, v0
	v_cmp_gt_u32_e32 vcc, s0, v0
	s_branch .LBB6_2
.LBB6_1:                                ;   in Loop: Header=BB6_2 Depth=1
	s_or_b64 exec, exec, s[0:1]
	s_add_i32 s4, s4, -1
	s_cmp_lg_u32 s4, 0
	s_waitcnt lgkmcnt(0)
	s_barrier
	s_cbranch_scc0 .LBB6_4
.LBB6_2:                                ; =>This Inner Loop Header: Depth=1
	s_waitcnt vmcnt(0)
	ds_write2_b64 v1, v[2:3], v[4:5] offset1:1
	s_waitcnt lgkmcnt(0)
	s_barrier
	s_and_saveexec_b64 s[0:1], vcc
	s_cbranch_execz .LBB6_1
; %bb.3:                                ;   in Loop: Header=BB6_2 Depth=1
	ds_read2_b64 v[2:5], v1 offset0:2 offset1:3
	s_branch .LBB6_1
.LBB6_4:
	v_mov_b32_e32 v1, s3
	v_add_co_u32_e32 v0, vcc, s2, v6
	v_addc_co_u32_e32 v1, vcc, v1, v7, vcc
	global_store_dwordx4 v[0:1], v[2:5], off
	s_endpgm
	.section	.rodata,"a",@progbits
	.p2align	6, 0x0
	.amdhsa_kernel _Z6kernelI6offsetN15benchmark_utils11custom_typeIddEELj256ELj1ELj100EEvPKT0_PS4_
		.amdhsa_group_segment_fixed_size 4096
		.amdhsa_private_segment_fixed_size 0
		.amdhsa_kernarg_size 16
		.amdhsa_user_sgpr_count 6
		.amdhsa_user_sgpr_private_segment_buffer 1
		.amdhsa_user_sgpr_dispatch_ptr 0
		.amdhsa_user_sgpr_queue_ptr 0
		.amdhsa_user_sgpr_kernarg_segment_ptr 1
		.amdhsa_user_sgpr_dispatch_id 0
		.amdhsa_user_sgpr_flat_scratch_init 0
		.amdhsa_user_sgpr_kernarg_preload_length 0
		.amdhsa_user_sgpr_kernarg_preload_offset 0
		.amdhsa_user_sgpr_private_segment_size 0
		.amdhsa_uses_dynamic_stack 0
		.amdhsa_system_sgpr_private_segment_wavefront_offset 0
		.amdhsa_system_sgpr_workgroup_id_x 1
		.amdhsa_system_sgpr_workgroup_id_y 0
		.amdhsa_system_sgpr_workgroup_id_z 0
		.amdhsa_system_sgpr_workgroup_info 0
		.amdhsa_system_vgpr_workitem_id 0
		.amdhsa_next_free_vgpr 8
		.amdhsa_next_free_sgpr 7
		.amdhsa_accum_offset 8
		.amdhsa_reserve_vcc 1
		.amdhsa_reserve_flat_scratch 0
		.amdhsa_float_round_mode_32 0
		.amdhsa_float_round_mode_16_64 0
		.amdhsa_float_denorm_mode_32 3
		.amdhsa_float_denorm_mode_16_64 3
		.amdhsa_dx10_clamp 1
		.amdhsa_ieee_mode 1
		.amdhsa_fp16_overflow 0
		.amdhsa_tg_split 0
		.amdhsa_exception_fp_ieee_invalid_op 0
		.amdhsa_exception_fp_denorm_src 0
		.amdhsa_exception_fp_ieee_div_zero 0
		.amdhsa_exception_fp_ieee_overflow 0
		.amdhsa_exception_fp_ieee_underflow 0
		.amdhsa_exception_fp_ieee_inexact 0
		.amdhsa_exception_int_div_zero 0
	.end_amdhsa_kernel
	.section	.text._Z6kernelI6offsetN15benchmark_utils11custom_typeIddEELj256ELj1ELj100EEvPKT0_PS4_,"axG",@progbits,_Z6kernelI6offsetN15benchmark_utils11custom_typeIddEELj256ELj1ELj100EEvPKT0_PS4_,comdat
.Lfunc_end6:
	.size	_Z6kernelI6offsetN15benchmark_utils11custom_typeIddEELj256ELj1ELj100EEvPKT0_PS4_, .Lfunc_end6-_Z6kernelI6offsetN15benchmark_utils11custom_typeIddEELj256ELj1ELj100EEvPKT0_PS4_
                                        ; -- End function
	.section	.AMDGPU.csdata,"",@progbits
; Kernel info:
; codeLenInByte = 160
; NumSgprs: 11
; NumVgprs: 8
; NumAgprs: 0
; TotalNumVgprs: 8
; ScratchSize: 0
; MemoryBound: 0
; FloatMode: 240
; IeeeMode: 1
; LDSByteSize: 4096 bytes/workgroup (compile time only)
; SGPRBlocks: 1
; VGPRBlocks: 0
; NumSGPRsForWavesPerEU: 11
; NumVGPRsForWavesPerEU: 8
; AccumOffset: 8
; Occupancy: 8
; WaveLimiterHint : 0
; COMPUTE_PGM_RSRC2:SCRATCH_EN: 0
; COMPUTE_PGM_RSRC2:USER_SGPR: 6
; COMPUTE_PGM_RSRC2:TRAP_HANDLER: 0
; COMPUTE_PGM_RSRC2:TGID_X_EN: 1
; COMPUTE_PGM_RSRC2:TGID_Y_EN: 0
; COMPUTE_PGM_RSRC2:TGID_Z_EN: 0
; COMPUTE_PGM_RSRC2:TIDIG_COMP_CNT: 0
; COMPUTE_PGM_RSRC3_GFX90A:ACCUM_OFFSET: 1
; COMPUTE_PGM_RSRC3_GFX90A:TG_SPLIT: 0
	.section	.text._Z6kernelI6rotateiLj256ELj1ELj100EEvPKT0_PS1_,"axG",@progbits,_Z6kernelI6rotateiLj256ELj1ELj100EEvPKT0_PS1_,comdat
	.protected	_Z6kernelI6rotateiLj256ELj1ELj100EEvPKT0_PS1_ ; -- Begin function _Z6kernelI6rotateiLj256ELj1ELj100EEvPKT0_PS1_
	.globl	_Z6kernelI6rotateiLj256ELj1ELj100EEvPKT0_PS1_
	.p2align	8
	.type	_Z6kernelI6rotateiLj256ELj1ELj100EEvPKT0_PS1_,@function
_Z6kernelI6rotateiLj256ELj1ELj100EEvPKT0_PS1_: ; @_Z6kernelI6rotateiLj256ELj1ELj100EEvPKT0_PS1_
; %bb.0:
	s_load_dwordx4 s[0:3], s[4:5], 0x0
	v_lshl_or_b32 v2, s6, 8, v0
	v_mov_b32_e32 v3, 0
	v_lshlrev_b64 v[2:3], 2, v[2:3]
	s_waitcnt lgkmcnt(0)
	v_mov_b32_e32 v1, s1
	v_add_co_u32_e32 v4, vcc, s0, v2
	v_addc_co_u32_e32 v5, vcc, v1, v3, vcc
	global_load_dword v1, v[4:5], off
	s_movk_i32 s0, 0xfe
	v_mov_b32_e32 v5, 0xfffffc04
	v_cmp_lt_u32_e32 vcc, s0, v0
	v_lshlrev_b32_e32 v4, 2, v0
	v_cndmask_b32_e32 v0, 4, v5, vcc
	v_add_u32_e32 v0, v4, v0
	s_movk_i32 s0, 0x64
.LBB7_1:                                ; =>This Inner Loop Header: Depth=1
	s_waitcnt vmcnt(0)
	ds_write_b32 v4, v1
	s_waitcnt lgkmcnt(0)
	s_barrier
	ds_read_b32 v1, v0
	s_add_i32 s0, s0, -1
	s_cmp_lg_u32 s0, 0
	s_waitcnt lgkmcnt(0)
	s_barrier
	s_cbranch_scc1 .LBB7_1
; %bb.2:
	v_mov_b32_e32 v0, s3
	v_add_co_u32_e32 v2, vcc, s2, v2
	v_addc_co_u32_e32 v3, vcc, v0, v3, vcc
	global_store_dword v[2:3], v1, off
	s_endpgm
	.section	.rodata,"a",@progbits
	.p2align	6, 0x0
	.amdhsa_kernel _Z6kernelI6rotateiLj256ELj1ELj100EEvPKT0_PS1_
		.amdhsa_group_segment_fixed_size 1024
		.amdhsa_private_segment_fixed_size 0
		.amdhsa_kernarg_size 16
		.amdhsa_user_sgpr_count 6
		.amdhsa_user_sgpr_private_segment_buffer 1
		.amdhsa_user_sgpr_dispatch_ptr 0
		.amdhsa_user_sgpr_queue_ptr 0
		.amdhsa_user_sgpr_kernarg_segment_ptr 1
		.amdhsa_user_sgpr_dispatch_id 0
		.amdhsa_user_sgpr_flat_scratch_init 0
		.amdhsa_user_sgpr_kernarg_preload_length 0
		.amdhsa_user_sgpr_kernarg_preload_offset 0
		.amdhsa_user_sgpr_private_segment_size 0
		.amdhsa_uses_dynamic_stack 0
		.amdhsa_system_sgpr_private_segment_wavefront_offset 0
		.amdhsa_system_sgpr_workgroup_id_x 1
		.amdhsa_system_sgpr_workgroup_id_y 0
		.amdhsa_system_sgpr_workgroup_id_z 0
		.amdhsa_system_sgpr_workgroup_info 0
		.amdhsa_system_vgpr_workitem_id 0
		.amdhsa_next_free_vgpr 6
		.amdhsa_next_free_sgpr 7
		.amdhsa_accum_offset 8
		.amdhsa_reserve_vcc 1
		.amdhsa_reserve_flat_scratch 0
		.amdhsa_float_round_mode_32 0
		.amdhsa_float_round_mode_16_64 0
		.amdhsa_float_denorm_mode_32 3
		.amdhsa_float_denorm_mode_16_64 3
		.amdhsa_dx10_clamp 1
		.amdhsa_ieee_mode 1
		.amdhsa_fp16_overflow 0
		.amdhsa_tg_split 0
		.amdhsa_exception_fp_ieee_invalid_op 0
		.amdhsa_exception_fp_denorm_src 0
		.amdhsa_exception_fp_ieee_div_zero 0
		.amdhsa_exception_fp_ieee_overflow 0
		.amdhsa_exception_fp_ieee_underflow 0
		.amdhsa_exception_fp_ieee_inexact 0
		.amdhsa_exception_int_div_zero 0
	.end_amdhsa_kernel
	.section	.text._Z6kernelI6rotateiLj256ELj1ELj100EEvPKT0_PS1_,"axG",@progbits,_Z6kernelI6rotateiLj256ELj1ELj100EEvPKT0_PS1_,comdat
.Lfunc_end7:
	.size	_Z6kernelI6rotateiLj256ELj1ELj100EEvPKT0_PS1_, .Lfunc_end7-_Z6kernelI6rotateiLj256ELj1ELj100EEvPKT0_PS1_
                                        ; -- End function
	.section	.AMDGPU.csdata,"",@progbits
; Kernel info:
; codeLenInByte = 156
; NumSgprs: 11
; NumVgprs: 6
; NumAgprs: 0
; TotalNumVgprs: 6
; ScratchSize: 0
; MemoryBound: 0
; FloatMode: 240
; IeeeMode: 1
; LDSByteSize: 1024 bytes/workgroup (compile time only)
; SGPRBlocks: 1
; VGPRBlocks: 0
; NumSGPRsForWavesPerEU: 11
; NumVGPRsForWavesPerEU: 6
; AccumOffset: 8
; Occupancy: 8
; WaveLimiterHint : 0
; COMPUTE_PGM_RSRC2:SCRATCH_EN: 0
; COMPUTE_PGM_RSRC2:USER_SGPR: 6
; COMPUTE_PGM_RSRC2:TRAP_HANDLER: 0
; COMPUTE_PGM_RSRC2:TGID_X_EN: 1
; COMPUTE_PGM_RSRC2:TGID_Y_EN: 0
; COMPUTE_PGM_RSRC2:TGID_Z_EN: 0
; COMPUTE_PGM_RSRC2:TIDIG_COMP_CNT: 0
; COMPUTE_PGM_RSRC3_GFX90A:ACCUM_OFFSET: 1
; COMPUTE_PGM_RSRC3_GFX90A:TG_SPLIT: 0
	.section	.text._Z6kernelI6rotatefLj256ELj1ELj100EEvPKT0_PS1_,"axG",@progbits,_Z6kernelI6rotatefLj256ELj1ELj100EEvPKT0_PS1_,comdat
	.protected	_Z6kernelI6rotatefLj256ELj1ELj100EEvPKT0_PS1_ ; -- Begin function _Z6kernelI6rotatefLj256ELj1ELj100EEvPKT0_PS1_
	.globl	_Z6kernelI6rotatefLj256ELj1ELj100EEvPKT0_PS1_
	.p2align	8
	.type	_Z6kernelI6rotatefLj256ELj1ELj100EEvPKT0_PS1_,@function
_Z6kernelI6rotatefLj256ELj1ELj100EEvPKT0_PS1_: ; @_Z6kernelI6rotatefLj256ELj1ELj100EEvPKT0_PS1_
; %bb.0:
	s_load_dwordx4 s[0:3], s[4:5], 0x0
	v_lshl_or_b32 v2, s6, 8, v0
	v_mov_b32_e32 v3, 0
	v_lshlrev_b64 v[2:3], 2, v[2:3]
	s_waitcnt lgkmcnt(0)
	v_mov_b32_e32 v1, s1
	v_add_co_u32_e32 v4, vcc, s0, v2
	v_addc_co_u32_e32 v5, vcc, v1, v3, vcc
	global_load_dword v1, v[4:5], off
	s_movk_i32 s0, 0xfe
	v_mov_b32_e32 v5, 0xfffffc04
	v_cmp_lt_u32_e32 vcc, s0, v0
	v_lshlrev_b32_e32 v4, 2, v0
	v_cndmask_b32_e32 v0, 4, v5, vcc
	v_add_u32_e32 v0, v4, v0
	s_movk_i32 s0, 0x64
.LBB8_1:                                ; =>This Inner Loop Header: Depth=1
	s_waitcnt vmcnt(0)
	ds_write_b32 v4, v1
	s_waitcnt lgkmcnt(0)
	s_barrier
	ds_read_b32 v1, v0
	s_add_i32 s0, s0, -1
	s_cmp_lg_u32 s0, 0
	s_waitcnt lgkmcnt(0)
	s_barrier
	s_cbranch_scc1 .LBB8_1
; %bb.2:
	v_mov_b32_e32 v0, s3
	v_add_co_u32_e32 v2, vcc, s2, v2
	v_addc_co_u32_e32 v3, vcc, v0, v3, vcc
	global_store_dword v[2:3], v1, off
	s_endpgm
	.section	.rodata,"a",@progbits
	.p2align	6, 0x0
	.amdhsa_kernel _Z6kernelI6rotatefLj256ELj1ELj100EEvPKT0_PS1_
		.amdhsa_group_segment_fixed_size 1024
		.amdhsa_private_segment_fixed_size 0
		.amdhsa_kernarg_size 16
		.amdhsa_user_sgpr_count 6
		.amdhsa_user_sgpr_private_segment_buffer 1
		.amdhsa_user_sgpr_dispatch_ptr 0
		.amdhsa_user_sgpr_queue_ptr 0
		.amdhsa_user_sgpr_kernarg_segment_ptr 1
		.amdhsa_user_sgpr_dispatch_id 0
		.amdhsa_user_sgpr_flat_scratch_init 0
		.amdhsa_user_sgpr_kernarg_preload_length 0
		.amdhsa_user_sgpr_kernarg_preload_offset 0
		.amdhsa_user_sgpr_private_segment_size 0
		.amdhsa_uses_dynamic_stack 0
		.amdhsa_system_sgpr_private_segment_wavefront_offset 0
		.amdhsa_system_sgpr_workgroup_id_x 1
		.amdhsa_system_sgpr_workgroup_id_y 0
		.amdhsa_system_sgpr_workgroup_id_z 0
		.amdhsa_system_sgpr_workgroup_info 0
		.amdhsa_system_vgpr_workitem_id 0
		.amdhsa_next_free_vgpr 6
		.amdhsa_next_free_sgpr 7
		.amdhsa_accum_offset 8
		.amdhsa_reserve_vcc 1
		.amdhsa_reserve_flat_scratch 0
		.amdhsa_float_round_mode_32 0
		.amdhsa_float_round_mode_16_64 0
		.amdhsa_float_denorm_mode_32 3
		.amdhsa_float_denorm_mode_16_64 3
		.amdhsa_dx10_clamp 1
		.amdhsa_ieee_mode 1
		.amdhsa_fp16_overflow 0
		.amdhsa_tg_split 0
		.amdhsa_exception_fp_ieee_invalid_op 0
		.amdhsa_exception_fp_denorm_src 0
		.amdhsa_exception_fp_ieee_div_zero 0
		.amdhsa_exception_fp_ieee_overflow 0
		.amdhsa_exception_fp_ieee_underflow 0
		.amdhsa_exception_fp_ieee_inexact 0
		.amdhsa_exception_int_div_zero 0
	.end_amdhsa_kernel
	.section	.text._Z6kernelI6rotatefLj256ELj1ELj100EEvPKT0_PS1_,"axG",@progbits,_Z6kernelI6rotatefLj256ELj1ELj100EEvPKT0_PS1_,comdat
.Lfunc_end8:
	.size	_Z6kernelI6rotatefLj256ELj1ELj100EEvPKT0_PS1_, .Lfunc_end8-_Z6kernelI6rotatefLj256ELj1ELj100EEvPKT0_PS1_
                                        ; -- End function
	.section	.AMDGPU.csdata,"",@progbits
; Kernel info:
; codeLenInByte = 156
; NumSgprs: 11
; NumVgprs: 6
; NumAgprs: 0
; TotalNumVgprs: 6
; ScratchSize: 0
; MemoryBound: 0
; FloatMode: 240
; IeeeMode: 1
; LDSByteSize: 1024 bytes/workgroup (compile time only)
; SGPRBlocks: 1
; VGPRBlocks: 0
; NumSGPRsForWavesPerEU: 11
; NumVGPRsForWavesPerEU: 6
; AccumOffset: 8
; Occupancy: 8
; WaveLimiterHint : 0
; COMPUTE_PGM_RSRC2:SCRATCH_EN: 0
; COMPUTE_PGM_RSRC2:USER_SGPR: 6
; COMPUTE_PGM_RSRC2:TRAP_HANDLER: 0
; COMPUTE_PGM_RSRC2:TGID_X_EN: 1
; COMPUTE_PGM_RSRC2:TGID_Y_EN: 0
; COMPUTE_PGM_RSRC2:TGID_Z_EN: 0
; COMPUTE_PGM_RSRC2:TIDIG_COMP_CNT: 0
; COMPUTE_PGM_RSRC3_GFX90A:ACCUM_OFFSET: 1
; COMPUTE_PGM_RSRC3_GFX90A:TG_SPLIT: 0
	.section	.text._Z6kernelI6rotatedLj256ELj1ELj100EEvPKT0_PS1_,"axG",@progbits,_Z6kernelI6rotatedLj256ELj1ELj100EEvPKT0_PS1_,comdat
	.protected	_Z6kernelI6rotatedLj256ELj1ELj100EEvPKT0_PS1_ ; -- Begin function _Z6kernelI6rotatedLj256ELj1ELj100EEvPKT0_PS1_
	.globl	_Z6kernelI6rotatedLj256ELj1ELj100EEvPKT0_PS1_
	.p2align	8
	.type	_Z6kernelI6rotatedLj256ELj1ELj100EEvPKT0_PS1_,@function
_Z6kernelI6rotatedLj256ELj1ELj100EEvPKT0_PS1_: ; @_Z6kernelI6rotatedLj256ELj1ELj100EEvPKT0_PS1_
; %bb.0:
	s_load_dwordx4 s[0:3], s[4:5], 0x0
	v_lshl_or_b32 v2, s6, 8, v0
	v_mov_b32_e32 v3, 0
	v_lshlrev_b64 v[2:3], 3, v[2:3]
	v_mov_b32_e32 v6, 0xfffff808
	s_waitcnt lgkmcnt(0)
	v_mov_b32_e32 v1, s1
	v_add_co_u32_e32 v4, vcc, s0, v2
	v_addc_co_u32_e32 v5, vcc, v1, v3, vcc
	global_load_dwordx2 v[4:5], v[4:5], off
	s_movk_i32 s0, 0xfe
	v_cmp_lt_u32_e32 vcc, s0, v0
	v_lshlrev_b32_e32 v1, 3, v0
	v_cndmask_b32_e32 v0, 8, v6, vcc
	v_add_u32_e32 v0, v1, v0
	s_movk_i32 s0, 0x64
.LBB9_1:                                ; =>This Inner Loop Header: Depth=1
	s_waitcnt vmcnt(0)
	ds_write_b64 v1, v[4:5]
	s_waitcnt lgkmcnt(0)
	s_barrier
	ds_read_b64 v[4:5], v0
	s_add_i32 s0, s0, -1
	s_cmp_lg_u32 s0, 0
	s_waitcnt lgkmcnt(0)
	s_barrier
	s_cbranch_scc1 .LBB9_1
; %bb.2:
	v_mov_b32_e32 v1, s3
	v_add_co_u32_e32 v0, vcc, s2, v2
	v_addc_co_u32_e32 v1, vcc, v1, v3, vcc
	global_store_dwordx2 v[0:1], v[4:5], off
	s_endpgm
	.section	.rodata,"a",@progbits
	.p2align	6, 0x0
	.amdhsa_kernel _Z6kernelI6rotatedLj256ELj1ELj100EEvPKT0_PS1_
		.amdhsa_group_segment_fixed_size 2048
		.amdhsa_private_segment_fixed_size 0
		.amdhsa_kernarg_size 16
		.amdhsa_user_sgpr_count 6
		.amdhsa_user_sgpr_private_segment_buffer 1
		.amdhsa_user_sgpr_dispatch_ptr 0
		.amdhsa_user_sgpr_queue_ptr 0
		.amdhsa_user_sgpr_kernarg_segment_ptr 1
		.amdhsa_user_sgpr_dispatch_id 0
		.amdhsa_user_sgpr_flat_scratch_init 0
		.amdhsa_user_sgpr_kernarg_preload_length 0
		.amdhsa_user_sgpr_kernarg_preload_offset 0
		.amdhsa_user_sgpr_private_segment_size 0
		.amdhsa_uses_dynamic_stack 0
		.amdhsa_system_sgpr_private_segment_wavefront_offset 0
		.amdhsa_system_sgpr_workgroup_id_x 1
		.amdhsa_system_sgpr_workgroup_id_y 0
		.amdhsa_system_sgpr_workgroup_id_z 0
		.amdhsa_system_sgpr_workgroup_info 0
		.amdhsa_system_vgpr_workitem_id 0
		.amdhsa_next_free_vgpr 7
		.amdhsa_next_free_sgpr 7
		.amdhsa_accum_offset 8
		.amdhsa_reserve_vcc 1
		.amdhsa_reserve_flat_scratch 0
		.amdhsa_float_round_mode_32 0
		.amdhsa_float_round_mode_16_64 0
		.amdhsa_float_denorm_mode_32 3
		.amdhsa_float_denorm_mode_16_64 3
		.amdhsa_dx10_clamp 1
		.amdhsa_ieee_mode 1
		.amdhsa_fp16_overflow 0
		.amdhsa_tg_split 0
		.amdhsa_exception_fp_ieee_invalid_op 0
		.amdhsa_exception_fp_denorm_src 0
		.amdhsa_exception_fp_ieee_div_zero 0
		.amdhsa_exception_fp_ieee_overflow 0
		.amdhsa_exception_fp_ieee_underflow 0
		.amdhsa_exception_fp_ieee_inexact 0
		.amdhsa_exception_int_div_zero 0
	.end_amdhsa_kernel
	.section	.text._Z6kernelI6rotatedLj256ELj1ELj100EEvPKT0_PS1_,"axG",@progbits,_Z6kernelI6rotatedLj256ELj1ELj100EEvPKT0_PS1_,comdat
.Lfunc_end9:
	.size	_Z6kernelI6rotatedLj256ELj1ELj100EEvPKT0_PS1_, .Lfunc_end9-_Z6kernelI6rotatedLj256ELj1ELj100EEvPKT0_PS1_
                                        ; -- End function
	.section	.AMDGPU.csdata,"",@progbits
; Kernel info:
; codeLenInByte = 156
; NumSgprs: 11
; NumVgprs: 7
; NumAgprs: 0
; TotalNumVgprs: 7
; ScratchSize: 0
; MemoryBound: 0
; FloatMode: 240
; IeeeMode: 1
; LDSByteSize: 2048 bytes/workgroup (compile time only)
; SGPRBlocks: 1
; VGPRBlocks: 0
; NumSGPRsForWavesPerEU: 11
; NumVGPRsForWavesPerEU: 7
; AccumOffset: 8
; Occupancy: 8
; WaveLimiterHint : 0
; COMPUTE_PGM_RSRC2:SCRATCH_EN: 0
; COMPUTE_PGM_RSRC2:USER_SGPR: 6
; COMPUTE_PGM_RSRC2:TRAP_HANDLER: 0
; COMPUTE_PGM_RSRC2:TGID_X_EN: 1
; COMPUTE_PGM_RSRC2:TGID_Y_EN: 0
; COMPUTE_PGM_RSRC2:TGID_Z_EN: 0
; COMPUTE_PGM_RSRC2:TIDIG_COMP_CNT: 0
; COMPUTE_PGM_RSRC3_GFX90A:ACCUM_OFFSET: 1
; COMPUTE_PGM_RSRC3_GFX90A:TG_SPLIT: 0
	.section	.text._Z6kernelI6rotateaLj256ELj1ELj100EEvPKT0_PS1_,"axG",@progbits,_Z6kernelI6rotateaLj256ELj1ELj100EEvPKT0_PS1_,comdat
	.protected	_Z6kernelI6rotateaLj256ELj1ELj100EEvPKT0_PS1_ ; -- Begin function _Z6kernelI6rotateaLj256ELj1ELj100EEvPKT0_PS1_
	.globl	_Z6kernelI6rotateaLj256ELj1ELj100EEvPKT0_PS1_
	.p2align	8
	.type	_Z6kernelI6rotateaLj256ELj1ELj100EEvPKT0_PS1_,@function
_Z6kernelI6rotateaLj256ELj1ELj100EEvPKT0_PS1_: ; @_Z6kernelI6rotateaLj256ELj1ELj100EEvPKT0_PS1_
; %bb.0:
	s_load_dwordx4 s[0:3], s[4:5], 0x0
	v_lshl_or_b32 v2, s6, 8, v0
	v_mov_b32_e32 v3, 0xffffff01
	s_waitcnt lgkmcnt(0)
	global_load_ubyte v1, v2, s[0:1]
	s_movk_i32 s0, 0xfe
	v_cmp_lt_u32_e32 vcc, s0, v0
	v_cndmask_b32_e32 v3, 1, v3, vcc
	s_movk_i32 s0, 0x64
	v_add_u32_e32 v3, v0, v3
.LBB10_1:                               ; =>This Inner Loop Header: Depth=1
	s_waitcnt vmcnt(0)
	ds_write_b8 v0, v1
	s_waitcnt lgkmcnt(0)
	s_barrier
	ds_read_u8 v1, v3
	s_add_i32 s0, s0, -1
	s_cmp_lg_u32 s0, 0
	s_waitcnt lgkmcnt(0)
	s_barrier
	s_cbranch_scc1 .LBB10_1
; %bb.2:
	v_mov_b32_e32 v0, s3
	v_add_co_u32_e32 v2, vcc, s2, v2
	v_addc_co_u32_e32 v3, vcc, 0, v0, vcc
	global_store_byte v[2:3], v1, off
	s_endpgm
	.section	.rodata,"a",@progbits
	.p2align	6, 0x0
	.amdhsa_kernel _Z6kernelI6rotateaLj256ELj1ELj100EEvPKT0_PS1_
		.amdhsa_group_segment_fixed_size 256
		.amdhsa_private_segment_fixed_size 0
		.amdhsa_kernarg_size 16
		.amdhsa_user_sgpr_count 6
		.amdhsa_user_sgpr_private_segment_buffer 1
		.amdhsa_user_sgpr_dispatch_ptr 0
		.amdhsa_user_sgpr_queue_ptr 0
		.amdhsa_user_sgpr_kernarg_segment_ptr 1
		.amdhsa_user_sgpr_dispatch_id 0
		.amdhsa_user_sgpr_flat_scratch_init 0
		.amdhsa_user_sgpr_kernarg_preload_length 0
		.amdhsa_user_sgpr_kernarg_preload_offset 0
		.amdhsa_user_sgpr_private_segment_size 0
		.amdhsa_uses_dynamic_stack 0
		.amdhsa_system_sgpr_private_segment_wavefront_offset 0
		.amdhsa_system_sgpr_workgroup_id_x 1
		.amdhsa_system_sgpr_workgroup_id_y 0
		.amdhsa_system_sgpr_workgroup_id_z 0
		.amdhsa_system_sgpr_workgroup_info 0
		.amdhsa_system_vgpr_workitem_id 0
		.amdhsa_next_free_vgpr 4
		.amdhsa_next_free_sgpr 7
		.amdhsa_accum_offset 4
		.amdhsa_reserve_vcc 1
		.amdhsa_reserve_flat_scratch 0
		.amdhsa_float_round_mode_32 0
		.amdhsa_float_round_mode_16_64 0
		.amdhsa_float_denorm_mode_32 3
		.amdhsa_float_denorm_mode_16_64 3
		.amdhsa_dx10_clamp 1
		.amdhsa_ieee_mode 1
		.amdhsa_fp16_overflow 0
		.amdhsa_tg_split 0
		.amdhsa_exception_fp_ieee_invalid_op 0
		.amdhsa_exception_fp_denorm_src 0
		.amdhsa_exception_fp_ieee_div_zero 0
		.amdhsa_exception_fp_ieee_overflow 0
		.amdhsa_exception_fp_ieee_underflow 0
		.amdhsa_exception_fp_ieee_inexact 0
		.amdhsa_exception_int_div_zero 0
	.end_amdhsa_kernel
	.section	.text._Z6kernelI6rotateaLj256ELj1ELj100EEvPKT0_PS1_,"axG",@progbits,_Z6kernelI6rotateaLj256ELj1ELj100EEvPKT0_PS1_,comdat
.Lfunc_end10:
	.size	_Z6kernelI6rotateaLj256ELj1ELj100EEvPKT0_PS1_, .Lfunc_end10-_Z6kernelI6rotateaLj256ELj1ELj100EEvPKT0_PS1_
                                        ; -- End function
	.section	.AMDGPU.csdata,"",@progbits
; Kernel info:
; codeLenInByte = 128
; NumSgprs: 11
; NumVgprs: 4
; NumAgprs: 0
; TotalNumVgprs: 4
; ScratchSize: 0
; MemoryBound: 0
; FloatMode: 240
; IeeeMode: 1
; LDSByteSize: 256 bytes/workgroup (compile time only)
; SGPRBlocks: 1
; VGPRBlocks: 0
; NumSGPRsForWavesPerEU: 11
; NumVGPRsForWavesPerEU: 4
; AccumOffset: 4
; Occupancy: 8
; WaveLimiterHint : 0
; COMPUTE_PGM_RSRC2:SCRATCH_EN: 0
; COMPUTE_PGM_RSRC2:USER_SGPR: 6
; COMPUTE_PGM_RSRC2:TRAP_HANDLER: 0
; COMPUTE_PGM_RSRC2:TGID_X_EN: 1
; COMPUTE_PGM_RSRC2:TGID_Y_EN: 0
; COMPUTE_PGM_RSRC2:TGID_Z_EN: 0
; COMPUTE_PGM_RSRC2:TIDIG_COMP_CNT: 0
; COMPUTE_PGM_RSRC3_GFX90A:ACCUM_OFFSET: 0
; COMPUTE_PGM_RSRC3_GFX90A:TG_SPLIT: 0
	.section	.text._Z6kernelI6rotatexLj256ELj1ELj100EEvPKT0_PS1_,"axG",@progbits,_Z6kernelI6rotatexLj256ELj1ELj100EEvPKT0_PS1_,comdat
	.protected	_Z6kernelI6rotatexLj256ELj1ELj100EEvPKT0_PS1_ ; -- Begin function _Z6kernelI6rotatexLj256ELj1ELj100EEvPKT0_PS1_
	.globl	_Z6kernelI6rotatexLj256ELj1ELj100EEvPKT0_PS1_
	.p2align	8
	.type	_Z6kernelI6rotatexLj256ELj1ELj100EEvPKT0_PS1_,@function
_Z6kernelI6rotatexLj256ELj1ELj100EEvPKT0_PS1_: ; @_Z6kernelI6rotatexLj256ELj1ELj100EEvPKT0_PS1_
; %bb.0:
	s_load_dwordx4 s[0:3], s[4:5], 0x0
	v_lshl_or_b32 v2, s6, 8, v0
	v_mov_b32_e32 v3, 0
	v_lshlrev_b64 v[2:3], 3, v[2:3]
	v_mov_b32_e32 v6, 0xfffff808
	s_waitcnt lgkmcnt(0)
	v_mov_b32_e32 v1, s1
	v_add_co_u32_e32 v4, vcc, s0, v2
	v_addc_co_u32_e32 v5, vcc, v1, v3, vcc
	global_load_dwordx2 v[4:5], v[4:5], off
	s_movk_i32 s0, 0xfe
	v_cmp_lt_u32_e32 vcc, s0, v0
	v_lshlrev_b32_e32 v1, 3, v0
	v_cndmask_b32_e32 v0, 8, v6, vcc
	v_add_u32_e32 v0, v1, v0
	s_movk_i32 s0, 0x64
.LBB11_1:                               ; =>This Inner Loop Header: Depth=1
	s_waitcnt vmcnt(0)
	ds_write_b64 v1, v[4:5]
	s_waitcnt lgkmcnt(0)
	s_barrier
	ds_read_b64 v[4:5], v0
	s_add_i32 s0, s0, -1
	s_cmp_lg_u32 s0, 0
	s_waitcnt lgkmcnt(0)
	s_barrier
	s_cbranch_scc1 .LBB11_1
; %bb.2:
	v_mov_b32_e32 v1, s3
	v_add_co_u32_e32 v0, vcc, s2, v2
	v_addc_co_u32_e32 v1, vcc, v1, v3, vcc
	global_store_dwordx2 v[0:1], v[4:5], off
	s_endpgm
	.section	.rodata,"a",@progbits
	.p2align	6, 0x0
	.amdhsa_kernel _Z6kernelI6rotatexLj256ELj1ELj100EEvPKT0_PS1_
		.amdhsa_group_segment_fixed_size 2048
		.amdhsa_private_segment_fixed_size 0
		.amdhsa_kernarg_size 16
		.amdhsa_user_sgpr_count 6
		.amdhsa_user_sgpr_private_segment_buffer 1
		.amdhsa_user_sgpr_dispatch_ptr 0
		.amdhsa_user_sgpr_queue_ptr 0
		.amdhsa_user_sgpr_kernarg_segment_ptr 1
		.amdhsa_user_sgpr_dispatch_id 0
		.amdhsa_user_sgpr_flat_scratch_init 0
		.amdhsa_user_sgpr_kernarg_preload_length 0
		.amdhsa_user_sgpr_kernarg_preload_offset 0
		.amdhsa_user_sgpr_private_segment_size 0
		.amdhsa_uses_dynamic_stack 0
		.amdhsa_system_sgpr_private_segment_wavefront_offset 0
		.amdhsa_system_sgpr_workgroup_id_x 1
		.amdhsa_system_sgpr_workgroup_id_y 0
		.amdhsa_system_sgpr_workgroup_id_z 0
		.amdhsa_system_sgpr_workgroup_info 0
		.amdhsa_system_vgpr_workitem_id 0
		.amdhsa_next_free_vgpr 7
		.amdhsa_next_free_sgpr 7
		.amdhsa_accum_offset 8
		.amdhsa_reserve_vcc 1
		.amdhsa_reserve_flat_scratch 0
		.amdhsa_float_round_mode_32 0
		.amdhsa_float_round_mode_16_64 0
		.amdhsa_float_denorm_mode_32 3
		.amdhsa_float_denorm_mode_16_64 3
		.amdhsa_dx10_clamp 1
		.amdhsa_ieee_mode 1
		.amdhsa_fp16_overflow 0
		.amdhsa_tg_split 0
		.amdhsa_exception_fp_ieee_invalid_op 0
		.amdhsa_exception_fp_denorm_src 0
		.amdhsa_exception_fp_ieee_div_zero 0
		.amdhsa_exception_fp_ieee_overflow 0
		.amdhsa_exception_fp_ieee_underflow 0
		.amdhsa_exception_fp_ieee_inexact 0
		.amdhsa_exception_int_div_zero 0
	.end_amdhsa_kernel
	.section	.text._Z6kernelI6rotatexLj256ELj1ELj100EEvPKT0_PS1_,"axG",@progbits,_Z6kernelI6rotatexLj256ELj1ELj100EEvPKT0_PS1_,comdat
.Lfunc_end11:
	.size	_Z6kernelI6rotatexLj256ELj1ELj100EEvPKT0_PS1_, .Lfunc_end11-_Z6kernelI6rotatexLj256ELj1ELj100EEvPKT0_PS1_
                                        ; -- End function
	.section	.AMDGPU.csdata,"",@progbits
; Kernel info:
; codeLenInByte = 156
; NumSgprs: 11
; NumVgprs: 7
; NumAgprs: 0
; TotalNumVgprs: 7
; ScratchSize: 0
; MemoryBound: 0
; FloatMode: 240
; IeeeMode: 1
; LDSByteSize: 2048 bytes/workgroup (compile time only)
; SGPRBlocks: 1
; VGPRBlocks: 0
; NumSGPRsForWavesPerEU: 11
; NumVGPRsForWavesPerEU: 7
; AccumOffset: 8
; Occupancy: 8
; WaveLimiterHint : 0
; COMPUTE_PGM_RSRC2:SCRATCH_EN: 0
; COMPUTE_PGM_RSRC2:USER_SGPR: 6
; COMPUTE_PGM_RSRC2:TRAP_HANDLER: 0
; COMPUTE_PGM_RSRC2:TGID_X_EN: 1
; COMPUTE_PGM_RSRC2:TGID_Y_EN: 0
; COMPUTE_PGM_RSRC2:TGID_Z_EN: 0
; COMPUTE_PGM_RSRC2:TIDIG_COMP_CNT: 0
; COMPUTE_PGM_RSRC3_GFX90A:ACCUM_OFFSET: 1
; COMPUTE_PGM_RSRC3_GFX90A:TG_SPLIT: 0
	.section	.text._Z6kernelI6rotateN15benchmark_utils11custom_typeIffEELj256ELj1ELj100EEvPKT0_PS4_,"axG",@progbits,_Z6kernelI6rotateN15benchmark_utils11custom_typeIffEELj256ELj1ELj100EEvPKT0_PS4_,comdat
	.protected	_Z6kernelI6rotateN15benchmark_utils11custom_typeIffEELj256ELj1ELj100EEvPKT0_PS4_ ; -- Begin function _Z6kernelI6rotateN15benchmark_utils11custom_typeIffEELj256ELj1ELj100EEvPKT0_PS4_
	.globl	_Z6kernelI6rotateN15benchmark_utils11custom_typeIffEELj256ELj1ELj100EEvPKT0_PS4_
	.p2align	8
	.type	_Z6kernelI6rotateN15benchmark_utils11custom_typeIffEELj256ELj1ELj100EEvPKT0_PS4_,@function
_Z6kernelI6rotateN15benchmark_utils11custom_typeIffEELj256ELj1ELj100EEvPKT0_PS4_: ; @_Z6kernelI6rotateN15benchmark_utils11custom_typeIffEELj256ELj1ELj100EEvPKT0_PS4_
; %bb.0:
	s_load_dwordx4 s[0:3], s[4:5], 0x0
	v_lshl_or_b32 v2, s6, 8, v0
	v_mov_b32_e32 v3, 0
	v_lshlrev_b64 v[2:3], 3, v[2:3]
	v_mov_b32_e32 v6, 0xfffff808
	s_waitcnt lgkmcnt(0)
	v_mov_b32_e32 v1, s1
	v_add_co_u32_e32 v4, vcc, s0, v2
	v_addc_co_u32_e32 v5, vcc, v1, v3, vcc
	global_load_dwordx2 v[4:5], v[4:5], off
	s_movk_i32 s0, 0xfe
	v_cmp_lt_u32_e32 vcc, s0, v0
	v_lshlrev_b32_e32 v1, 3, v0
	v_cndmask_b32_e32 v0, 8, v6, vcc
	v_add_u32_e32 v0, v1, v0
	s_movk_i32 s0, 0x64
.LBB12_1:                               ; =>This Inner Loop Header: Depth=1
	s_waitcnt vmcnt(0)
	ds_write2_b32 v1, v4, v5 offset1:1
	s_waitcnt lgkmcnt(0)
	s_barrier
	ds_read2_b32 v[4:5], v0 offset1:1
	s_add_i32 s0, s0, -1
	s_cmp_lg_u32 s0, 0
	s_waitcnt lgkmcnt(0)
	s_barrier
	s_cbranch_scc1 .LBB12_1
; %bb.2:
	v_mov_b32_e32 v1, s3
	v_add_co_u32_e32 v0, vcc, s2, v2
	v_addc_co_u32_e32 v1, vcc, v1, v3, vcc
	global_store_dwordx2 v[0:1], v[4:5], off
	s_endpgm
	.section	.rodata,"a",@progbits
	.p2align	6, 0x0
	.amdhsa_kernel _Z6kernelI6rotateN15benchmark_utils11custom_typeIffEELj256ELj1ELj100EEvPKT0_PS4_
		.amdhsa_group_segment_fixed_size 2048
		.amdhsa_private_segment_fixed_size 0
		.amdhsa_kernarg_size 16
		.amdhsa_user_sgpr_count 6
		.amdhsa_user_sgpr_private_segment_buffer 1
		.amdhsa_user_sgpr_dispatch_ptr 0
		.amdhsa_user_sgpr_queue_ptr 0
		.amdhsa_user_sgpr_kernarg_segment_ptr 1
		.amdhsa_user_sgpr_dispatch_id 0
		.amdhsa_user_sgpr_flat_scratch_init 0
		.amdhsa_user_sgpr_kernarg_preload_length 0
		.amdhsa_user_sgpr_kernarg_preload_offset 0
		.amdhsa_user_sgpr_private_segment_size 0
		.amdhsa_uses_dynamic_stack 0
		.amdhsa_system_sgpr_private_segment_wavefront_offset 0
		.amdhsa_system_sgpr_workgroup_id_x 1
		.amdhsa_system_sgpr_workgroup_id_y 0
		.amdhsa_system_sgpr_workgroup_id_z 0
		.amdhsa_system_sgpr_workgroup_info 0
		.amdhsa_system_vgpr_workitem_id 0
		.amdhsa_next_free_vgpr 7
		.amdhsa_next_free_sgpr 7
		.amdhsa_accum_offset 8
		.amdhsa_reserve_vcc 1
		.amdhsa_reserve_flat_scratch 0
		.amdhsa_float_round_mode_32 0
		.amdhsa_float_round_mode_16_64 0
		.amdhsa_float_denorm_mode_32 3
		.amdhsa_float_denorm_mode_16_64 3
		.amdhsa_dx10_clamp 1
		.amdhsa_ieee_mode 1
		.amdhsa_fp16_overflow 0
		.amdhsa_tg_split 0
		.amdhsa_exception_fp_ieee_invalid_op 0
		.amdhsa_exception_fp_denorm_src 0
		.amdhsa_exception_fp_ieee_div_zero 0
		.amdhsa_exception_fp_ieee_overflow 0
		.amdhsa_exception_fp_ieee_underflow 0
		.amdhsa_exception_fp_ieee_inexact 0
		.amdhsa_exception_int_div_zero 0
	.end_amdhsa_kernel
	.section	.text._Z6kernelI6rotateN15benchmark_utils11custom_typeIffEELj256ELj1ELj100EEvPKT0_PS4_,"axG",@progbits,_Z6kernelI6rotateN15benchmark_utils11custom_typeIffEELj256ELj1ELj100EEvPKT0_PS4_,comdat
.Lfunc_end12:
	.size	_Z6kernelI6rotateN15benchmark_utils11custom_typeIffEELj256ELj1ELj100EEvPKT0_PS4_, .Lfunc_end12-_Z6kernelI6rotateN15benchmark_utils11custom_typeIffEELj256ELj1ELj100EEvPKT0_PS4_
                                        ; -- End function
	.section	.AMDGPU.csdata,"",@progbits
; Kernel info:
; codeLenInByte = 156
; NumSgprs: 11
; NumVgprs: 7
; NumAgprs: 0
; TotalNumVgprs: 7
; ScratchSize: 0
; MemoryBound: 0
; FloatMode: 240
; IeeeMode: 1
; LDSByteSize: 2048 bytes/workgroup (compile time only)
; SGPRBlocks: 1
; VGPRBlocks: 0
; NumSGPRsForWavesPerEU: 11
; NumVGPRsForWavesPerEU: 7
; AccumOffset: 8
; Occupancy: 8
; WaveLimiterHint : 0
; COMPUTE_PGM_RSRC2:SCRATCH_EN: 0
; COMPUTE_PGM_RSRC2:USER_SGPR: 6
; COMPUTE_PGM_RSRC2:TRAP_HANDLER: 0
; COMPUTE_PGM_RSRC2:TGID_X_EN: 1
; COMPUTE_PGM_RSRC2:TGID_Y_EN: 0
; COMPUTE_PGM_RSRC2:TGID_Z_EN: 0
; COMPUTE_PGM_RSRC2:TIDIG_COMP_CNT: 0
; COMPUTE_PGM_RSRC3_GFX90A:ACCUM_OFFSET: 1
; COMPUTE_PGM_RSRC3_GFX90A:TG_SPLIT: 0
	.section	.text._Z6kernelI6rotateN15benchmark_utils11custom_typeIddEELj256ELj1ELj100EEvPKT0_PS4_,"axG",@progbits,_Z6kernelI6rotateN15benchmark_utils11custom_typeIddEELj256ELj1ELj100EEvPKT0_PS4_,comdat
	.protected	_Z6kernelI6rotateN15benchmark_utils11custom_typeIddEELj256ELj1ELj100EEvPKT0_PS4_ ; -- Begin function _Z6kernelI6rotateN15benchmark_utils11custom_typeIddEELj256ELj1ELj100EEvPKT0_PS4_
	.globl	_Z6kernelI6rotateN15benchmark_utils11custom_typeIddEELj256ELj1ELj100EEvPKT0_PS4_
	.p2align	8
	.type	_Z6kernelI6rotateN15benchmark_utils11custom_typeIddEELj256ELj1ELj100EEvPKT0_PS4_,@function
_Z6kernelI6rotateN15benchmark_utils11custom_typeIddEELj256ELj1ELj100EEvPKT0_PS4_: ; @_Z6kernelI6rotateN15benchmark_utils11custom_typeIddEELj256ELj1ELj100EEvPKT0_PS4_
; %bb.0:
	s_load_dwordx4 s[0:3], s[4:5], 0x0
	v_lshl_or_b32 v2, s6, 8, v0
	v_mov_b32_e32 v3, 0
	v_lshlrev_b64 v[6:7], 4, v[2:3]
	v_mov_b32_e32 v8, 0xfffff010
	s_waitcnt lgkmcnt(0)
	v_mov_b32_e32 v1, s1
	v_add_co_u32_e32 v2, vcc, s0, v6
	v_addc_co_u32_e32 v3, vcc, v1, v7, vcc
	global_load_dwordx4 v[2:5], v[2:3], off
	s_movk_i32 s0, 0xfe
	v_cmp_lt_u32_e32 vcc, s0, v0
	v_lshlrev_b32_e32 v1, 4, v0
	v_cndmask_b32_e32 v0, 16, v8, vcc
	v_add_u32_e32 v0, v1, v0
	s_movk_i32 s0, 0x64
.LBB13_1:                               ; =>This Inner Loop Header: Depth=1
	s_waitcnt vmcnt(0)
	ds_write2_b64 v1, v[2:3], v[4:5] offset1:1
	s_waitcnt lgkmcnt(0)
	s_barrier
	ds_read2_b64 v[2:5], v0 offset1:1
	s_add_i32 s0, s0, -1
	s_cmp_lg_u32 s0, 0
	s_waitcnt lgkmcnt(0)
	s_barrier
	s_cbranch_scc1 .LBB13_1
; %bb.2:
	v_mov_b32_e32 v1, s3
	v_add_co_u32_e32 v0, vcc, s2, v6
	v_addc_co_u32_e32 v1, vcc, v1, v7, vcc
	global_store_dwordx4 v[0:1], v[2:5], off
	s_endpgm
	.section	.rodata,"a",@progbits
	.p2align	6, 0x0
	.amdhsa_kernel _Z6kernelI6rotateN15benchmark_utils11custom_typeIddEELj256ELj1ELj100EEvPKT0_PS4_
		.amdhsa_group_segment_fixed_size 4096
		.amdhsa_private_segment_fixed_size 0
		.amdhsa_kernarg_size 16
		.amdhsa_user_sgpr_count 6
		.amdhsa_user_sgpr_private_segment_buffer 1
		.amdhsa_user_sgpr_dispatch_ptr 0
		.amdhsa_user_sgpr_queue_ptr 0
		.amdhsa_user_sgpr_kernarg_segment_ptr 1
		.amdhsa_user_sgpr_dispatch_id 0
		.amdhsa_user_sgpr_flat_scratch_init 0
		.amdhsa_user_sgpr_kernarg_preload_length 0
		.amdhsa_user_sgpr_kernarg_preload_offset 0
		.amdhsa_user_sgpr_private_segment_size 0
		.amdhsa_uses_dynamic_stack 0
		.amdhsa_system_sgpr_private_segment_wavefront_offset 0
		.amdhsa_system_sgpr_workgroup_id_x 1
		.amdhsa_system_sgpr_workgroup_id_y 0
		.amdhsa_system_sgpr_workgroup_id_z 0
		.amdhsa_system_sgpr_workgroup_info 0
		.amdhsa_system_vgpr_workitem_id 0
		.amdhsa_next_free_vgpr 9
		.amdhsa_next_free_sgpr 7
		.amdhsa_accum_offset 12
		.amdhsa_reserve_vcc 1
		.amdhsa_reserve_flat_scratch 0
		.amdhsa_float_round_mode_32 0
		.amdhsa_float_round_mode_16_64 0
		.amdhsa_float_denorm_mode_32 3
		.amdhsa_float_denorm_mode_16_64 3
		.amdhsa_dx10_clamp 1
		.amdhsa_ieee_mode 1
		.amdhsa_fp16_overflow 0
		.amdhsa_tg_split 0
		.amdhsa_exception_fp_ieee_invalid_op 0
		.amdhsa_exception_fp_denorm_src 0
		.amdhsa_exception_fp_ieee_div_zero 0
		.amdhsa_exception_fp_ieee_overflow 0
		.amdhsa_exception_fp_ieee_underflow 0
		.amdhsa_exception_fp_ieee_inexact 0
		.amdhsa_exception_int_div_zero 0
	.end_amdhsa_kernel
	.section	.text._Z6kernelI6rotateN15benchmark_utils11custom_typeIddEELj256ELj1ELj100EEvPKT0_PS4_,"axG",@progbits,_Z6kernelI6rotateN15benchmark_utils11custom_typeIddEELj256ELj1ELj100EEvPKT0_PS4_,comdat
.Lfunc_end13:
	.size	_Z6kernelI6rotateN15benchmark_utils11custom_typeIddEELj256ELj1ELj100EEvPKT0_PS4_, .Lfunc_end13-_Z6kernelI6rotateN15benchmark_utils11custom_typeIddEELj256ELj1ELj100EEvPKT0_PS4_
                                        ; -- End function
	.section	.AMDGPU.csdata,"",@progbits
; Kernel info:
; codeLenInByte = 156
; NumSgprs: 11
; NumVgprs: 9
; NumAgprs: 0
; TotalNumVgprs: 9
; ScratchSize: 0
; MemoryBound: 0
; FloatMode: 240
; IeeeMode: 1
; LDSByteSize: 4096 bytes/workgroup (compile time only)
; SGPRBlocks: 1
; VGPRBlocks: 1
; NumSGPRsForWavesPerEU: 11
; NumVGPRsForWavesPerEU: 9
; AccumOffset: 12
; Occupancy: 8
; WaveLimiterHint : 0
; COMPUTE_PGM_RSRC2:SCRATCH_EN: 0
; COMPUTE_PGM_RSRC2:USER_SGPR: 6
; COMPUTE_PGM_RSRC2:TRAP_HANDLER: 0
; COMPUTE_PGM_RSRC2:TGID_X_EN: 1
; COMPUTE_PGM_RSRC2:TGID_Y_EN: 0
; COMPUTE_PGM_RSRC2:TGID_Z_EN: 0
; COMPUTE_PGM_RSRC2:TIDIG_COMP_CNT: 0
; COMPUTE_PGM_RSRC3_GFX90A:ACCUM_OFFSET: 2
; COMPUTE_PGM_RSRC3_GFX90A:TG_SPLIT: 0
	.section	.text._Z6kernelI2upiLj256ELj1ELj100EEvPKT0_PS1_,"axG",@progbits,_Z6kernelI2upiLj256ELj1ELj100EEvPKT0_PS1_,comdat
	.protected	_Z6kernelI2upiLj256ELj1ELj100EEvPKT0_PS1_ ; -- Begin function _Z6kernelI2upiLj256ELj1ELj100EEvPKT0_PS1_
	.globl	_Z6kernelI2upiLj256ELj1ELj100EEvPKT0_PS1_
	.p2align	8
	.type	_Z6kernelI2upiLj256ELj1ELj100EEvPKT0_PS1_,@function
_Z6kernelI2upiLj256ELj1ELj100EEvPKT0_PS1_: ; @_Z6kernelI2upiLj256ELj1ELj100EEvPKT0_PS1_
; %bb.0:
	s_load_dwordx4 s[0:3], s[4:5], 0x0
	v_lshl_or_b32 v2, s6, 8, v0
	v_mov_b32_e32 v3, 0
	v_lshlrev_b64 v[2:3], 2, v[2:3]
	s_movk_i32 s4, 0x64
	s_waitcnt lgkmcnt(0)
	v_mov_b32_e32 v1, s1
	v_add_co_u32_e32 v4, vcc, s0, v2
	v_addc_co_u32_e32 v5, vcc, v1, v3, vcc
	global_load_dword v1, v[4:5], off
	v_lshlrev_b32_e32 v4, 2, v0
	v_cmp_ne_u32_e32 vcc, 0, v0
	v_add_u32_e32 v0, -4, v4
	s_branch .LBB14_2
.LBB14_1:                               ;   in Loop: Header=BB14_2 Depth=1
	s_or_b64 exec, exec, s[0:1]
	s_add_i32 s4, s4, -1
	s_cmp_lg_u32 s4, 0
	s_waitcnt lgkmcnt(0)
	s_barrier
	s_cbranch_scc0 .LBB14_4
.LBB14_2:                               ; =>This Inner Loop Header: Depth=1
	s_waitcnt vmcnt(0)
	ds_write_b32 v4, v1
	s_waitcnt lgkmcnt(0)
	s_barrier
	s_and_saveexec_b64 s[0:1], vcc
	s_cbranch_execz .LBB14_1
; %bb.3:                                ;   in Loop: Header=BB14_2 Depth=1
	ds_read_b32 v1, v0
	s_branch .LBB14_1
.LBB14_4:
	v_mov_b32_e32 v0, s3
	v_add_co_u32_e32 v2, vcc, s2, v2
	v_addc_co_u32_e32 v3, vcc, v0, v3, vcc
	global_store_dword v[2:3], v1, off
	s_endpgm
	.section	.rodata,"a",@progbits
	.p2align	6, 0x0
	.amdhsa_kernel _Z6kernelI2upiLj256ELj1ELj100EEvPKT0_PS1_
		.amdhsa_group_segment_fixed_size 1024
		.amdhsa_private_segment_fixed_size 0
		.amdhsa_kernarg_size 16
		.amdhsa_user_sgpr_count 6
		.amdhsa_user_sgpr_private_segment_buffer 1
		.amdhsa_user_sgpr_dispatch_ptr 0
		.amdhsa_user_sgpr_queue_ptr 0
		.amdhsa_user_sgpr_kernarg_segment_ptr 1
		.amdhsa_user_sgpr_dispatch_id 0
		.amdhsa_user_sgpr_flat_scratch_init 0
		.amdhsa_user_sgpr_kernarg_preload_length 0
		.amdhsa_user_sgpr_kernarg_preload_offset 0
		.amdhsa_user_sgpr_private_segment_size 0
		.amdhsa_uses_dynamic_stack 0
		.amdhsa_system_sgpr_private_segment_wavefront_offset 0
		.amdhsa_system_sgpr_workgroup_id_x 1
		.amdhsa_system_sgpr_workgroup_id_y 0
		.amdhsa_system_sgpr_workgroup_id_z 0
		.amdhsa_system_sgpr_workgroup_info 0
		.amdhsa_system_vgpr_workitem_id 0
		.amdhsa_next_free_vgpr 6
		.amdhsa_next_free_sgpr 7
		.amdhsa_accum_offset 8
		.amdhsa_reserve_vcc 1
		.amdhsa_reserve_flat_scratch 0
		.amdhsa_float_round_mode_32 0
		.amdhsa_float_round_mode_16_64 0
		.amdhsa_float_denorm_mode_32 3
		.amdhsa_float_denorm_mode_16_64 3
		.amdhsa_dx10_clamp 1
		.amdhsa_ieee_mode 1
		.amdhsa_fp16_overflow 0
		.amdhsa_tg_split 0
		.amdhsa_exception_fp_ieee_invalid_op 0
		.amdhsa_exception_fp_denorm_src 0
		.amdhsa_exception_fp_ieee_div_zero 0
		.amdhsa_exception_fp_ieee_overflow 0
		.amdhsa_exception_fp_ieee_underflow 0
		.amdhsa_exception_fp_ieee_inexact 0
		.amdhsa_exception_int_div_zero 0
	.end_amdhsa_kernel
	.section	.text._Z6kernelI2upiLj256ELj1ELj100EEvPKT0_PS1_,"axG",@progbits,_Z6kernelI2upiLj256ELj1ELj100EEvPKT0_PS1_,comdat
.Lfunc_end14:
	.size	_Z6kernelI2upiLj256ELj1ELj100EEvPKT0_PS1_, .Lfunc_end14-_Z6kernelI2upiLj256ELj1ELj100EEvPKT0_PS1_
                                        ; -- End function
	.section	.AMDGPU.csdata,"",@progbits
; Kernel info:
; codeLenInByte = 160
; NumSgprs: 11
; NumVgprs: 6
; NumAgprs: 0
; TotalNumVgprs: 6
; ScratchSize: 0
; MemoryBound: 0
; FloatMode: 240
; IeeeMode: 1
; LDSByteSize: 1024 bytes/workgroup (compile time only)
; SGPRBlocks: 1
; VGPRBlocks: 0
; NumSGPRsForWavesPerEU: 11
; NumVGPRsForWavesPerEU: 6
; AccumOffset: 8
; Occupancy: 8
; WaveLimiterHint : 0
; COMPUTE_PGM_RSRC2:SCRATCH_EN: 0
; COMPUTE_PGM_RSRC2:USER_SGPR: 6
; COMPUTE_PGM_RSRC2:TRAP_HANDLER: 0
; COMPUTE_PGM_RSRC2:TGID_X_EN: 1
; COMPUTE_PGM_RSRC2:TGID_Y_EN: 0
; COMPUTE_PGM_RSRC2:TGID_Z_EN: 0
; COMPUTE_PGM_RSRC2:TIDIG_COMP_CNT: 0
; COMPUTE_PGM_RSRC3_GFX90A:ACCUM_OFFSET: 1
; COMPUTE_PGM_RSRC3_GFX90A:TG_SPLIT: 0
	.section	.text._Z6kernelI2upiLj256ELj3ELj100EEvPKT0_PS1_,"axG",@progbits,_Z6kernelI2upiLj256ELj3ELj100EEvPKT0_PS1_,comdat
	.protected	_Z6kernelI2upiLj256ELj3ELj100EEvPKT0_PS1_ ; -- Begin function _Z6kernelI2upiLj256ELj3ELj100EEvPKT0_PS1_
	.globl	_Z6kernelI2upiLj256ELj3ELj100EEvPKT0_PS1_
	.p2align	8
	.type	_Z6kernelI2upiLj256ELj3ELj100EEvPKT0_PS1_,@function
_Z6kernelI2upiLj256ELj3ELj100EEvPKT0_PS1_: ; @_Z6kernelI2upiLj256ELj3ELj100EEvPKT0_PS1_
; %bb.0:
	s_load_dwordx4 s[0:3], s[4:5], 0x0
	v_lshl_or_b32 v1, s6, 8, v0
	v_lshl_add_u32 v6, v1, 1, v1
	v_mov_b32_e32 v7, 0
	v_lshlrev_b64 v[2:3], 2, v[6:7]
	s_waitcnt lgkmcnt(0)
	v_mov_b32_e32 v1, s1
	v_add_co_u32_e32 v12, vcc, s0, v2
	v_add_u32_e32 v4, 1, v6
	v_mov_b32_e32 v5, v7
	v_addc_co_u32_e32 v13, vcc, v1, v3, vcc
	v_lshlrev_b64 v[4:5], 2, v[4:5]
	v_add_co_u32_e32 v14, vcc, s0, v4
	v_add_u32_e32 v6, 2, v6
	v_addc_co_u32_e32 v15, vcc, v1, v5, vcc
	v_lshlrev_b64 v[6:7], 2, v[6:7]
	v_add_co_u32_e32 v16, vcc, s0, v6
	v_addc_co_u32_e32 v17, vcc, v1, v7, vcc
	global_load_dword v8, v[12:13], off
	global_load_dword v1, v[14:15], off
	;; [unrolled: 1-line block ×3, first 2 shown]
	v_lshlrev_b32_e32 v9, 2, v0
	v_cmp_ne_u32_e32 vcc, 0, v0
	v_add_u32_e32 v10, -4, v9
	s_movk_i32 s4, 0x64
.LBB15_1:                               ; =>This Inner Loop Header: Depth=1
	s_waitcnt vmcnt(1)
	v_mov_b32_e32 v0, v1
	v_mov_b32_e32 v1, v8
	s_waitcnt vmcnt(0)
	ds_write_b32 v9, v11
	s_waitcnt lgkmcnt(0)
	s_barrier
	s_and_saveexec_b64 s[0:1], vcc
	s_cbranch_execz .LBB15_3
; %bb.2:                                ;   in Loop: Header=BB15_1 Depth=1
	ds_read_b32 v8, v10
.LBB15_3:                               ;   in Loop: Header=BB15_1 Depth=1
	s_or_b64 exec, exec, s[0:1]
	s_add_i32 s4, s4, -1
	s_cmp_lg_u32 s4, 0
	s_waitcnt lgkmcnt(0)
	s_barrier
	s_cbranch_scc0 .LBB15_5
; %bb.4:                                ;   in Loop: Header=BB15_1 Depth=1
	v_mov_b32_e32 v11, v0
	s_branch .LBB15_1
.LBB15_5:
	v_mov_b32_e32 v9, s3
	v_add_co_u32_e32 v2, vcc, s2, v2
	v_addc_co_u32_e32 v3, vcc, v9, v3, vcc
	global_store_dword v[2:3], v8, off
	v_mov_b32_e32 v3, s3
	v_add_co_u32_e32 v2, vcc, s2, v4
	v_addc_co_u32_e32 v3, vcc, v3, v5, vcc
	global_store_dword v[2:3], v1, off
	;; [unrolled: 4-line block ×3, first 2 shown]
	s_endpgm
	.section	.rodata,"a",@progbits
	.p2align	6, 0x0
	.amdhsa_kernel _Z6kernelI2upiLj256ELj3ELj100EEvPKT0_PS1_
		.amdhsa_group_segment_fixed_size 1024
		.amdhsa_private_segment_fixed_size 0
		.amdhsa_kernarg_size 16
		.amdhsa_user_sgpr_count 6
		.amdhsa_user_sgpr_private_segment_buffer 1
		.amdhsa_user_sgpr_dispatch_ptr 0
		.amdhsa_user_sgpr_queue_ptr 0
		.amdhsa_user_sgpr_kernarg_segment_ptr 1
		.amdhsa_user_sgpr_dispatch_id 0
		.amdhsa_user_sgpr_flat_scratch_init 0
		.amdhsa_user_sgpr_kernarg_preload_length 0
		.amdhsa_user_sgpr_kernarg_preload_offset 0
		.amdhsa_user_sgpr_private_segment_size 0
		.amdhsa_uses_dynamic_stack 0
		.amdhsa_system_sgpr_private_segment_wavefront_offset 0
		.amdhsa_system_sgpr_workgroup_id_x 1
		.amdhsa_system_sgpr_workgroup_id_y 0
		.amdhsa_system_sgpr_workgroup_id_z 0
		.amdhsa_system_sgpr_workgroup_info 0
		.amdhsa_system_vgpr_workitem_id 0
		.amdhsa_next_free_vgpr 18
		.amdhsa_next_free_sgpr 7
		.amdhsa_accum_offset 20
		.amdhsa_reserve_vcc 1
		.amdhsa_reserve_flat_scratch 0
		.amdhsa_float_round_mode_32 0
		.amdhsa_float_round_mode_16_64 0
		.amdhsa_float_denorm_mode_32 3
		.amdhsa_float_denorm_mode_16_64 3
		.amdhsa_dx10_clamp 1
		.amdhsa_ieee_mode 1
		.amdhsa_fp16_overflow 0
		.amdhsa_tg_split 0
		.amdhsa_exception_fp_ieee_invalid_op 0
		.amdhsa_exception_fp_denorm_src 0
		.amdhsa_exception_fp_ieee_div_zero 0
		.amdhsa_exception_fp_ieee_overflow 0
		.amdhsa_exception_fp_ieee_underflow 0
		.amdhsa_exception_fp_ieee_inexact 0
		.amdhsa_exception_int_div_zero 0
	.end_amdhsa_kernel
	.section	.text._Z6kernelI2upiLj256ELj3ELj100EEvPKT0_PS1_,"axG",@progbits,_Z6kernelI2upiLj256ELj3ELj100EEvPKT0_PS1_,comdat
.Lfunc_end15:
	.size	_Z6kernelI2upiLj256ELj3ELj100EEvPKT0_PS1_, .Lfunc_end15-_Z6kernelI2upiLj256ELj3ELj100EEvPKT0_PS1_
                                        ; -- End function
	.section	.AMDGPU.csdata,"",@progbits
; Kernel info:
; codeLenInByte = 280
; NumSgprs: 11
; NumVgprs: 18
; NumAgprs: 0
; TotalNumVgprs: 18
; ScratchSize: 0
; MemoryBound: 0
; FloatMode: 240
; IeeeMode: 1
; LDSByteSize: 1024 bytes/workgroup (compile time only)
; SGPRBlocks: 1
; VGPRBlocks: 2
; NumSGPRsForWavesPerEU: 11
; NumVGPRsForWavesPerEU: 18
; AccumOffset: 20
; Occupancy: 8
; WaveLimiterHint : 0
; COMPUTE_PGM_RSRC2:SCRATCH_EN: 0
; COMPUTE_PGM_RSRC2:USER_SGPR: 6
; COMPUTE_PGM_RSRC2:TRAP_HANDLER: 0
; COMPUTE_PGM_RSRC2:TGID_X_EN: 1
; COMPUTE_PGM_RSRC2:TGID_Y_EN: 0
; COMPUTE_PGM_RSRC2:TGID_Z_EN: 0
; COMPUTE_PGM_RSRC2:TIDIG_COMP_CNT: 0
; COMPUTE_PGM_RSRC3_GFX90A:ACCUM_OFFSET: 4
; COMPUTE_PGM_RSRC3_GFX90A:TG_SPLIT: 0
	.section	.text._Z6kernelI2upiLj256ELj4ELj100EEvPKT0_PS1_,"axG",@progbits,_Z6kernelI2upiLj256ELj4ELj100EEvPKT0_PS1_,comdat
	.protected	_Z6kernelI2upiLj256ELj4ELj100EEvPKT0_PS1_ ; -- Begin function _Z6kernelI2upiLj256ELj4ELj100EEvPKT0_PS1_
	.globl	_Z6kernelI2upiLj256ELj4ELj100EEvPKT0_PS1_
	.p2align	8
	.type	_Z6kernelI2upiLj256ELj4ELj100EEvPKT0_PS1_,@function
_Z6kernelI2upiLj256ELj4ELj100EEvPKT0_PS1_: ; @_Z6kernelI2upiLj256ELj4ELj100EEvPKT0_PS1_
; %bb.0:
	s_load_dwordx4 s[0:3], s[4:5], 0x0
	v_lshlrev_b32_e32 v1, 2, v0
	v_lshl_or_b32 v2, s6, 10, v1
	v_mov_b32_e32 v3, 0
	v_lshlrev_b64 v[10:11], 2, v[2:3]
	s_waitcnt lgkmcnt(0)
	v_mov_b32_e32 v3, s1
	v_add_co_u32_e32 v2, vcc, s0, v10
	v_addc_co_u32_e32 v3, vcc, v3, v11, vcc
	global_load_dwordx4 v[2:5], v[2:3], off
	v_cmp_ne_u32_e32 vcc, 0, v0
	v_add_u32_e32 v12, -4, v1
	s_movk_i32 s4, 0x64
	s_waitcnt vmcnt(0)
	v_mov_b32_e32 v0, v3
.LBB16_1:                               ; =>This Inner Loop Header: Depth=1
	v_mov_b32_e32 v3, v4
	v_mov_b32_e32 v4, v0
	;; [unrolled: 1-line block ×3, first 2 shown]
	v_pk_mov_b32 v[8:9], v[2:3], v[2:3] op_sel:[0,1]
	v_pk_mov_b32 v[6:7], v[0:1], v[0:1] op_sel:[0,1]
	ds_write_b32 v1, v5
	s_waitcnt lgkmcnt(0)
	s_barrier
	s_and_saveexec_b64 s[0:1], vcc
	s_cbranch_execz .LBB16_3
; %bb.2:                                ;   in Loop: Header=BB16_1 Depth=1
	ds_read_b32 v6, v12
	s_waitcnt lgkmcnt(0)
	v_mov_b32_e32 v2, v6
.LBB16_3:                               ;   in Loop: Header=BB16_1 Depth=1
	s_or_b64 exec, exec, s[0:1]
	s_add_i32 s4, s4, -1
	s_cmp_lg_u32 s4, 0
	s_barrier
	s_cbranch_scc0 .LBB16_5
; %bb.4:                                ;   in Loop: Header=BB16_1 Depth=1
	v_mov_b32_e32 v5, v3
	s_branch .LBB16_1
.LBB16_5:
	v_mov_b32_e32 v7, v0
	v_mov_b32_e32 v1, s3
	v_add_co_u32_e32 v0, vcc, s2, v10
	v_mov_b32_e32 v8, v4
	v_mov_b32_e32 v9, v3
	v_addc_co_u32_e32 v1, vcc, v1, v11, vcc
	global_store_dwordx4 v[0:1], v[6:9], off
	s_endpgm
	.section	.rodata,"a",@progbits
	.p2align	6, 0x0
	.amdhsa_kernel _Z6kernelI2upiLj256ELj4ELj100EEvPKT0_PS1_
		.amdhsa_group_segment_fixed_size 1024
		.amdhsa_private_segment_fixed_size 0
		.amdhsa_kernarg_size 16
		.amdhsa_user_sgpr_count 6
		.amdhsa_user_sgpr_private_segment_buffer 1
		.amdhsa_user_sgpr_dispatch_ptr 0
		.amdhsa_user_sgpr_queue_ptr 0
		.amdhsa_user_sgpr_kernarg_segment_ptr 1
		.amdhsa_user_sgpr_dispatch_id 0
		.amdhsa_user_sgpr_flat_scratch_init 0
		.amdhsa_user_sgpr_kernarg_preload_length 0
		.amdhsa_user_sgpr_kernarg_preload_offset 0
		.amdhsa_user_sgpr_private_segment_size 0
		.amdhsa_uses_dynamic_stack 0
		.amdhsa_system_sgpr_private_segment_wavefront_offset 0
		.amdhsa_system_sgpr_workgroup_id_x 1
		.amdhsa_system_sgpr_workgroup_id_y 0
		.amdhsa_system_sgpr_workgroup_id_z 0
		.amdhsa_system_sgpr_workgroup_info 0
		.amdhsa_system_vgpr_workitem_id 0
		.amdhsa_next_free_vgpr 13
		.amdhsa_next_free_sgpr 7
		.amdhsa_accum_offset 16
		.amdhsa_reserve_vcc 1
		.amdhsa_reserve_flat_scratch 0
		.amdhsa_float_round_mode_32 0
		.amdhsa_float_round_mode_16_64 0
		.amdhsa_float_denorm_mode_32 3
		.amdhsa_float_denorm_mode_16_64 3
		.amdhsa_dx10_clamp 1
		.amdhsa_ieee_mode 1
		.amdhsa_fp16_overflow 0
		.amdhsa_tg_split 0
		.amdhsa_exception_fp_ieee_invalid_op 0
		.amdhsa_exception_fp_denorm_src 0
		.amdhsa_exception_fp_ieee_div_zero 0
		.amdhsa_exception_fp_ieee_overflow 0
		.amdhsa_exception_fp_ieee_underflow 0
		.amdhsa_exception_fp_ieee_inexact 0
		.amdhsa_exception_int_div_zero 0
	.end_amdhsa_kernel
	.section	.text._Z6kernelI2upiLj256ELj4ELj100EEvPKT0_PS1_,"axG",@progbits,_Z6kernelI2upiLj256ELj4ELj100EEvPKT0_PS1_,comdat
.Lfunc_end16:
	.size	_Z6kernelI2upiLj256ELj4ELj100EEvPKT0_PS1_, .Lfunc_end16-_Z6kernelI2upiLj256ELj4ELj100EEvPKT0_PS1_
                                        ; -- End function
	.section	.AMDGPU.csdata,"",@progbits
; Kernel info:
; codeLenInByte = 208
; NumSgprs: 11
; NumVgprs: 13
; NumAgprs: 0
; TotalNumVgprs: 13
; ScratchSize: 0
; MemoryBound: 0
; FloatMode: 240
; IeeeMode: 1
; LDSByteSize: 1024 bytes/workgroup (compile time only)
; SGPRBlocks: 1
; VGPRBlocks: 1
; NumSGPRsForWavesPerEU: 11
; NumVGPRsForWavesPerEU: 13
; AccumOffset: 16
; Occupancy: 8
; WaveLimiterHint : 0
; COMPUTE_PGM_RSRC2:SCRATCH_EN: 0
; COMPUTE_PGM_RSRC2:USER_SGPR: 6
; COMPUTE_PGM_RSRC2:TRAP_HANDLER: 0
; COMPUTE_PGM_RSRC2:TGID_X_EN: 1
; COMPUTE_PGM_RSRC2:TGID_Y_EN: 0
; COMPUTE_PGM_RSRC2:TGID_Z_EN: 0
; COMPUTE_PGM_RSRC2:TIDIG_COMP_CNT: 0
; COMPUTE_PGM_RSRC3_GFX90A:ACCUM_OFFSET: 3
; COMPUTE_PGM_RSRC3_GFX90A:TG_SPLIT: 0
	.section	.text._Z6kernelI2upiLj256ELj8ELj100EEvPKT0_PS1_,"axG",@progbits,_Z6kernelI2upiLj256ELj8ELj100EEvPKT0_PS1_,comdat
	.protected	_Z6kernelI2upiLj256ELj8ELj100EEvPKT0_PS1_ ; -- Begin function _Z6kernelI2upiLj256ELj8ELj100EEvPKT0_PS1_
	.globl	_Z6kernelI2upiLj256ELj8ELj100EEvPKT0_PS1_
	.p2align	8
	.type	_Z6kernelI2upiLj256ELj8ELj100EEvPKT0_PS1_,@function
_Z6kernelI2upiLj256ELj8ELj100EEvPKT0_PS1_: ; @_Z6kernelI2upiLj256ELj8ELj100EEvPKT0_PS1_
; %bb.0:
	s_load_dwordx4 s[0:3], s[4:5], 0x0
	v_lshlrev_b32_e32 v1, 3, v0
	v_lshl_or_b32 v2, s6, 11, v1
	v_mov_b32_e32 v3, 0
	v_lshlrev_b64 v[18:19], 2, v[2:3]
	s_waitcnt lgkmcnt(0)
	v_mov_b32_e32 v1, s1
	v_add_co_u32_e32 v2, vcc, s0, v18
	v_addc_co_u32_e32 v3, vcc, v1, v19, vcc
	global_load_dwordx4 v[14:17], v[2:3], off
	global_load_dwordx4 v[10:13], v[2:3], off offset:16
	v_lshlrev_b32_e32 v20, 2, v0
	v_cmp_ne_u32_e32 vcc, 0, v0
	v_add_u32_e32 v21, -4, v20
	s_movk_i32 s4, 0x64
	s_waitcnt vmcnt(1)
	v_mov_b32_e32 v0, v15
.LBB17_1:                               ; =>This Inner Loop Header: Depth=1
	s_waitcnt vmcnt(0)
	v_mov_b32_e32 v1, v12
	v_mov_b32_e32 v12, v11
	;; [unrolled: 1-line block ×7, first 2 shown]
	v_pk_mov_b32 v[8:9], v[6:7], v[6:7] op_sel:[0,1]
	v_pk_mov_b32 v[6:7], v[4:5], v[4:5] op_sel:[0,1]
	;; [unrolled: 1-line block ×4, first 2 shown]
	ds_write_b32 v20, v13
	s_waitcnt lgkmcnt(0)
	s_barrier
	s_and_saveexec_b64 s[0:1], vcc
	s_cbranch_execz .LBB17_3
; %bb.2:                                ;   in Loop: Header=BB17_1 Depth=1
	ds_read_b32 v2, v21
	s_waitcnt lgkmcnt(0)
	v_mov_b32_e32 v14, v2
.LBB17_3:                               ;   in Loop: Header=BB17_1 Depth=1
	s_or_b64 exec, exec, s[0:1]
	s_add_i32 s4, s4, -1
	s_cmp_lg_u32 s4, 0
	s_barrier
	s_cbranch_scc0 .LBB17_5
; %bb.4:                                ;   in Loop: Header=BB17_1 Depth=1
	v_mov_b32_e32 v13, v1
	s_branch .LBB17_1
.LBB17_5:
	v_mov_b32_e32 v3, s3
	v_add_co_u32_e32 v6, vcc, s2, v18
	v_addc_co_u32_e32 v7, vcc, v3, v19, vcc
	v_mov_b32_e32 v3, v0
	v_mov_b32_e32 v4, v16
	;; [unrolled: 1-line block ×4, first 2 shown]
	global_store_dwordx4 v[6:7], v[2:5], off
	global_store_dwordx4 v[6:7], v[10:13], off offset:16
	s_endpgm
	.section	.rodata,"a",@progbits
	.p2align	6, 0x0
	.amdhsa_kernel _Z6kernelI2upiLj256ELj8ELj100EEvPKT0_PS1_
		.amdhsa_group_segment_fixed_size 1024
		.amdhsa_private_segment_fixed_size 0
		.amdhsa_kernarg_size 16
		.amdhsa_user_sgpr_count 6
		.amdhsa_user_sgpr_private_segment_buffer 1
		.amdhsa_user_sgpr_dispatch_ptr 0
		.amdhsa_user_sgpr_queue_ptr 0
		.amdhsa_user_sgpr_kernarg_segment_ptr 1
		.amdhsa_user_sgpr_dispatch_id 0
		.amdhsa_user_sgpr_flat_scratch_init 0
		.amdhsa_user_sgpr_kernarg_preload_length 0
		.amdhsa_user_sgpr_kernarg_preload_offset 0
		.amdhsa_user_sgpr_private_segment_size 0
		.amdhsa_uses_dynamic_stack 0
		.amdhsa_system_sgpr_private_segment_wavefront_offset 0
		.amdhsa_system_sgpr_workgroup_id_x 1
		.amdhsa_system_sgpr_workgroup_id_y 0
		.amdhsa_system_sgpr_workgroup_id_z 0
		.amdhsa_system_sgpr_workgroup_info 0
		.amdhsa_system_vgpr_workitem_id 0
		.amdhsa_next_free_vgpr 22
		.amdhsa_next_free_sgpr 7
		.amdhsa_accum_offset 24
		.amdhsa_reserve_vcc 1
		.amdhsa_reserve_flat_scratch 0
		.amdhsa_float_round_mode_32 0
		.amdhsa_float_round_mode_16_64 0
		.amdhsa_float_denorm_mode_32 3
		.amdhsa_float_denorm_mode_16_64 3
		.amdhsa_dx10_clamp 1
		.amdhsa_ieee_mode 1
		.amdhsa_fp16_overflow 0
		.amdhsa_tg_split 0
		.amdhsa_exception_fp_ieee_invalid_op 0
		.amdhsa_exception_fp_denorm_src 0
		.amdhsa_exception_fp_ieee_div_zero 0
		.amdhsa_exception_fp_ieee_overflow 0
		.amdhsa_exception_fp_ieee_underflow 0
		.amdhsa_exception_fp_ieee_inexact 0
		.amdhsa_exception_int_div_zero 0
	.end_amdhsa_kernel
	.section	.text._Z6kernelI2upiLj256ELj8ELj100EEvPKT0_PS1_,"axG",@progbits,_Z6kernelI2upiLj256ELj8ELj100EEvPKT0_PS1_,comdat
.Lfunc_end17:
	.size	_Z6kernelI2upiLj256ELj8ELj100EEvPKT0_PS1_, .Lfunc_end17-_Z6kernelI2upiLj256ELj8ELj100EEvPKT0_PS1_
                                        ; -- End function
	.section	.AMDGPU.csdata,"",@progbits
; Kernel info:
; codeLenInByte = 268
; NumSgprs: 11
; NumVgprs: 22
; NumAgprs: 0
; TotalNumVgprs: 22
; ScratchSize: 0
; MemoryBound: 0
; FloatMode: 240
; IeeeMode: 1
; LDSByteSize: 1024 bytes/workgroup (compile time only)
; SGPRBlocks: 1
; VGPRBlocks: 2
; NumSGPRsForWavesPerEU: 11
; NumVGPRsForWavesPerEU: 22
; AccumOffset: 24
; Occupancy: 8
; WaveLimiterHint : 0
; COMPUTE_PGM_RSRC2:SCRATCH_EN: 0
; COMPUTE_PGM_RSRC2:USER_SGPR: 6
; COMPUTE_PGM_RSRC2:TRAP_HANDLER: 0
; COMPUTE_PGM_RSRC2:TGID_X_EN: 1
; COMPUTE_PGM_RSRC2:TGID_Y_EN: 0
; COMPUTE_PGM_RSRC2:TGID_Z_EN: 0
; COMPUTE_PGM_RSRC2:TIDIG_COMP_CNT: 0
; COMPUTE_PGM_RSRC3_GFX90A:ACCUM_OFFSET: 5
; COMPUTE_PGM_RSRC3_GFX90A:TG_SPLIT: 0
	.section	.text._Z6kernelI2upiLj256ELj16ELj100EEvPKT0_PS1_,"axG",@progbits,_Z6kernelI2upiLj256ELj16ELj100EEvPKT0_PS1_,comdat
	.protected	_Z6kernelI2upiLj256ELj16ELj100EEvPKT0_PS1_ ; -- Begin function _Z6kernelI2upiLj256ELj16ELj100EEvPKT0_PS1_
	.globl	_Z6kernelI2upiLj256ELj16ELj100EEvPKT0_PS1_
	.p2align	8
	.type	_Z6kernelI2upiLj256ELj16ELj100EEvPKT0_PS1_,@function
_Z6kernelI2upiLj256ELj16ELj100EEvPKT0_PS1_: ; @_Z6kernelI2upiLj256ELj16ELj100EEvPKT0_PS1_
; %bb.0:
	s_load_dwordx4 s[0:3], s[4:5], 0x0
	v_lshlrev_b32_e32 v1, 4, v0
	v_lshl_or_b32 v2, s6, 12, v1
	v_mov_b32_e32 v3, 0
	v_lshlrev_b64 v[20:21], 2, v[2:3]
	s_waitcnt lgkmcnt(0)
	v_mov_b32_e32 v1, s1
	v_add_co_u32_e32 v18, vcc, s0, v20
	v_addc_co_u32_e32 v19, vcc, v1, v21, vcc
	global_load_dwordx4 v[6:9], v[18:19], off
	global_load_dwordx4 v[10:13], v[18:19], off offset:16
	global_load_dwordx4 v[2:5], v[18:19], off offset:48
	;; [unrolled: 1-line block ×3, first 2 shown]
	v_lshlrev_b32_e32 v1, 2, v0
	v_cmp_ne_u32_e32 vcc, 0, v0
	v_add_u32_e32 v0, -4, v1
	s_movk_i32 s4, 0x64
.LBB18_1:                               ; =>This Inner Loop Header: Depth=1
	s_waitcnt vmcnt(1)
	v_mov_b32_e32 v18, v2
	s_waitcnt vmcnt(0)
	v_mov_b32_e32 v2, v17
	v_mov_b32_e32 v17, v16
	;; [unrolled: 1-line block ×12, first 2 shown]
	ds_write_b32 v1, v5
	s_waitcnt lgkmcnt(0)
	s_barrier
	s_and_saveexec_b64 s[0:1], vcc
	s_cbranch_execz .LBB18_3
; %bb.2:                                ;   in Loop: Header=BB18_1 Depth=1
	ds_read_b32 v6, v0
.LBB18_3:                               ;   in Loop: Header=BB18_1 Depth=1
	s_or_b64 exec, exec, s[0:1]
	s_add_i32 s4, s4, -1
	s_cmp_lg_u32 s4, 0
	s_waitcnt lgkmcnt(0)
	s_barrier
	s_cbranch_scc0 .LBB18_5
; %bb.4:                                ;   in Loop: Header=BB18_1 Depth=1
	v_mov_b32_e32 v5, v4
	v_mov_b32_e32 v4, v3
	;; [unrolled: 1-line block ×3, first 2 shown]
	s_branch .LBB18_1
.LBB18_5:
	v_mov_b32_e32 v1, s3
	v_add_co_u32_e32 v0, vcc, s2, v20
	v_addc_co_u32_e32 v1, vcc, v1, v21, vcc
	global_store_dwordx3 v[0:1], v[6:8], off
	v_mov_b32_e32 v19, v3
	v_mov_b32_e32 v6, v9
	;; [unrolled: 1-line block ×5, first 2 shown]
	global_store_dwordx4 v[0:1], v[6:9], off offset:12
	s_nop 0
	v_mov_b32_e32 v6, v13
	v_mov_b32_e32 v7, v14
	;; [unrolled: 1-line block ×6, first 2 shown]
	global_store_dwordx4 v[0:1], v[6:9], off offset:28
	global_store_dwordx4 v[0:1], v[16:19], off offset:44
	global_store_dword v[0:1], v4, off offset:60
	s_endpgm
	.section	.rodata,"a",@progbits
	.p2align	6, 0x0
	.amdhsa_kernel _Z6kernelI2upiLj256ELj16ELj100EEvPKT0_PS1_
		.amdhsa_group_segment_fixed_size 1024
		.amdhsa_private_segment_fixed_size 0
		.amdhsa_kernarg_size 16
		.amdhsa_user_sgpr_count 6
		.amdhsa_user_sgpr_private_segment_buffer 1
		.amdhsa_user_sgpr_dispatch_ptr 0
		.amdhsa_user_sgpr_queue_ptr 0
		.amdhsa_user_sgpr_kernarg_segment_ptr 1
		.amdhsa_user_sgpr_dispatch_id 0
		.amdhsa_user_sgpr_flat_scratch_init 0
		.amdhsa_user_sgpr_kernarg_preload_length 0
		.amdhsa_user_sgpr_kernarg_preload_offset 0
		.amdhsa_user_sgpr_private_segment_size 0
		.amdhsa_uses_dynamic_stack 0
		.amdhsa_system_sgpr_private_segment_wavefront_offset 0
		.amdhsa_system_sgpr_workgroup_id_x 1
		.amdhsa_system_sgpr_workgroup_id_y 0
		.amdhsa_system_sgpr_workgroup_id_z 0
		.amdhsa_system_sgpr_workgroup_info 0
		.amdhsa_system_vgpr_workitem_id 0
		.amdhsa_next_free_vgpr 22
		.amdhsa_next_free_sgpr 7
		.amdhsa_accum_offset 24
		.amdhsa_reserve_vcc 1
		.amdhsa_reserve_flat_scratch 0
		.amdhsa_float_round_mode_32 0
		.amdhsa_float_round_mode_16_64 0
		.amdhsa_float_denorm_mode_32 3
		.amdhsa_float_denorm_mode_16_64 3
		.amdhsa_dx10_clamp 1
		.amdhsa_ieee_mode 1
		.amdhsa_fp16_overflow 0
		.amdhsa_tg_split 0
		.amdhsa_exception_fp_ieee_invalid_op 0
		.amdhsa_exception_fp_denorm_src 0
		.amdhsa_exception_fp_ieee_div_zero 0
		.amdhsa_exception_fp_ieee_overflow 0
		.amdhsa_exception_fp_ieee_underflow 0
		.amdhsa_exception_fp_ieee_inexact 0
		.amdhsa_exception_int_div_zero 0
	.end_amdhsa_kernel
	.section	.text._Z6kernelI2upiLj256ELj16ELj100EEvPKT0_PS1_,"axG",@progbits,_Z6kernelI2upiLj256ELj16ELj100EEvPKT0_PS1_,comdat
.Lfunc_end18:
	.size	_Z6kernelI2upiLj256ELj16ELj100EEvPKT0_PS1_, .Lfunc_end18-_Z6kernelI2upiLj256ELj16ELj100EEvPKT0_PS1_
                                        ; -- End function
	.section	.AMDGPU.csdata,"",@progbits
; Kernel info:
; codeLenInByte = 332
; NumSgprs: 11
; NumVgprs: 22
; NumAgprs: 0
; TotalNumVgprs: 22
; ScratchSize: 0
; MemoryBound: 0
; FloatMode: 240
; IeeeMode: 1
; LDSByteSize: 1024 bytes/workgroup (compile time only)
; SGPRBlocks: 1
; VGPRBlocks: 2
; NumSGPRsForWavesPerEU: 11
; NumVGPRsForWavesPerEU: 22
; AccumOffset: 24
; Occupancy: 8
; WaveLimiterHint : 0
; COMPUTE_PGM_RSRC2:SCRATCH_EN: 0
; COMPUTE_PGM_RSRC2:USER_SGPR: 6
; COMPUTE_PGM_RSRC2:TRAP_HANDLER: 0
; COMPUTE_PGM_RSRC2:TGID_X_EN: 1
; COMPUTE_PGM_RSRC2:TGID_Y_EN: 0
; COMPUTE_PGM_RSRC2:TGID_Z_EN: 0
; COMPUTE_PGM_RSRC2:TIDIG_COMP_CNT: 0
; COMPUTE_PGM_RSRC3_GFX90A:ACCUM_OFFSET: 5
; COMPUTE_PGM_RSRC3_GFX90A:TG_SPLIT: 0
	.section	.text._Z6kernelI2upiLj256ELj32ELj100EEvPKT0_PS1_,"axG",@progbits,_Z6kernelI2upiLj256ELj32ELj100EEvPKT0_PS1_,comdat
	.protected	_Z6kernelI2upiLj256ELj32ELj100EEvPKT0_PS1_ ; -- Begin function _Z6kernelI2upiLj256ELj32ELj100EEvPKT0_PS1_
	.globl	_Z6kernelI2upiLj256ELj32ELj100EEvPKT0_PS1_
	.p2align	8
	.type	_Z6kernelI2upiLj256ELj32ELj100EEvPKT0_PS1_,@function
_Z6kernelI2upiLj256ELj32ELj100EEvPKT0_PS1_: ; @_Z6kernelI2upiLj256ELj32ELj100EEvPKT0_PS1_
; %bb.0:
	s_load_dwordx4 s[0:3], s[4:5], 0x0
	v_lshlrev_b32_e32 v1, 5, v0
	v_lshl_or_b32 v2, s6, 13, v1
	v_mov_b32_e32 v3, 0
	v_lshlrev_b64 v[36:37], 2, v[2:3]
	s_waitcnt lgkmcnt(0)
	v_mov_b32_e32 v1, s1
	v_add_co_u32_e32 v34, vcc, s0, v36
	v_addc_co_u32_e32 v35, vcc, v1, v37, vcc
	global_load_dwordx4 v[6:9], v[34:35], off
	global_load_dwordx4 v[10:13], v[34:35], off offset:16
	global_load_dwordx4 v[14:17], v[34:35], off offset:32
	;; [unrolled: 1-line block ×7, first 2 shown]
	v_lshlrev_b32_e32 v1, 2, v0
	v_cmp_ne_u32_e32 vcc, 0, v0
	v_add_u32_e32 v0, -4, v1
	s_movk_i32 s4, 0x64
.LBB19_1:                               ; =>This Inner Loop Header: Depth=1
	s_waitcnt vmcnt(1)
	v_mov_b32_e32 v34, v2
	s_waitcnt vmcnt(0)
	v_mov_b32_e32 v2, v33
	v_mov_b32_e32 v33, v32
	;; [unrolled: 1-line block ×28, first 2 shown]
	ds_write_b32 v1, v5
	s_waitcnt lgkmcnt(0)
	s_barrier
	s_and_saveexec_b64 s[0:1], vcc
	s_cbranch_execz .LBB19_3
; %bb.2:                                ;   in Loop: Header=BB19_1 Depth=1
	ds_read_b32 v6, v0
.LBB19_3:                               ;   in Loop: Header=BB19_1 Depth=1
	s_or_b64 exec, exec, s[0:1]
	s_add_i32 s4, s4, -1
	s_cmp_lg_u32 s4, 0
	s_waitcnt lgkmcnt(0)
	s_barrier
	s_cbranch_scc0 .LBB19_5
; %bb.4:                                ;   in Loop: Header=BB19_1 Depth=1
	v_mov_b32_e32 v5, v4
	v_mov_b32_e32 v4, v3
	;; [unrolled: 1-line block ×3, first 2 shown]
	s_branch .LBB19_1
.LBB19_5:
	v_mov_b32_e32 v1, s3
	v_add_co_u32_e32 v0, vcc, s2, v36
	v_addc_co_u32_e32 v1, vcc, v1, v37, vcc
	global_store_dwordx3 v[0:1], v[6:8], off
	v_mov_b32_e32 v35, v3
	v_mov_b32_e32 v6, v9
	;; [unrolled: 1-line block ×5, first 2 shown]
	global_store_dwordx4 v[0:1], v[6:9], off offset:12
	s_nop 0
	v_mov_b32_e32 v6, v13
	v_mov_b32_e32 v7, v14
	v_mov_b32_e32 v8, v15
	v_mov_b32_e32 v9, v16
	global_store_dwordx4 v[0:1], v[6:9], off offset:28
	s_nop 0
	v_mov_b32_e32 v6, v17
	v_mov_b32_e32 v7, v18
	v_mov_b32_e32 v8, v19
	v_mov_b32_e32 v9, v20
	;; [unrolled: 6-line block ×5, first 2 shown]
	v_mov_b32_e32 v32, v33
	v_mov_b32_e32 v33, v2
	global_store_dwordx4 v[0:1], v[6:9], off offset:92
	global_store_dwordx4 v[0:1], v[32:35], off offset:108
	global_store_dword v[0:1], v4, off offset:124
	s_endpgm
	.section	.rodata,"a",@progbits
	.p2align	6, 0x0
	.amdhsa_kernel _Z6kernelI2upiLj256ELj32ELj100EEvPKT0_PS1_
		.amdhsa_group_segment_fixed_size 1024
		.amdhsa_private_segment_fixed_size 0
		.amdhsa_kernarg_size 16
		.amdhsa_user_sgpr_count 6
		.amdhsa_user_sgpr_private_segment_buffer 1
		.amdhsa_user_sgpr_dispatch_ptr 0
		.amdhsa_user_sgpr_queue_ptr 0
		.amdhsa_user_sgpr_kernarg_segment_ptr 1
		.amdhsa_user_sgpr_dispatch_id 0
		.amdhsa_user_sgpr_flat_scratch_init 0
		.amdhsa_user_sgpr_kernarg_preload_length 0
		.amdhsa_user_sgpr_kernarg_preload_offset 0
		.amdhsa_user_sgpr_private_segment_size 0
		.amdhsa_uses_dynamic_stack 0
		.amdhsa_system_sgpr_private_segment_wavefront_offset 0
		.amdhsa_system_sgpr_workgroup_id_x 1
		.amdhsa_system_sgpr_workgroup_id_y 0
		.amdhsa_system_sgpr_workgroup_id_z 0
		.amdhsa_system_sgpr_workgroup_info 0
		.amdhsa_system_vgpr_workitem_id 0
		.amdhsa_next_free_vgpr 38
		.amdhsa_next_free_sgpr 7
		.amdhsa_accum_offset 40
		.amdhsa_reserve_vcc 1
		.amdhsa_reserve_flat_scratch 0
		.amdhsa_float_round_mode_32 0
		.amdhsa_float_round_mode_16_64 0
		.amdhsa_float_denorm_mode_32 3
		.amdhsa_float_denorm_mode_16_64 3
		.amdhsa_dx10_clamp 1
		.amdhsa_ieee_mode 1
		.amdhsa_fp16_overflow 0
		.amdhsa_tg_split 0
		.amdhsa_exception_fp_ieee_invalid_op 0
		.amdhsa_exception_fp_denorm_src 0
		.amdhsa_exception_fp_ieee_div_zero 0
		.amdhsa_exception_fp_ieee_overflow 0
		.amdhsa_exception_fp_ieee_underflow 0
		.amdhsa_exception_fp_ieee_inexact 0
		.amdhsa_exception_int_div_zero 0
	.end_amdhsa_kernel
	.section	.text._Z6kernelI2upiLj256ELj32ELj100EEvPKT0_PS1_,"axG",@progbits,_Z6kernelI2upiLj256ELj32ELj100EEvPKT0_PS1_,comdat
.Lfunc_end19:
	.size	_Z6kernelI2upiLj256ELj32ELj100EEvPKT0_PS1_, .Lfunc_end19-_Z6kernelI2upiLj256ELj32ELj100EEvPKT0_PS1_
                                        ; -- End function
	.section	.AMDGPU.csdata,"",@progbits
; Kernel info:
; codeLenInByte = 540
; NumSgprs: 11
; NumVgprs: 38
; NumAgprs: 0
; TotalNumVgprs: 38
; ScratchSize: 0
; MemoryBound: 0
; FloatMode: 240
; IeeeMode: 1
; LDSByteSize: 1024 bytes/workgroup (compile time only)
; SGPRBlocks: 1
; VGPRBlocks: 4
; NumSGPRsForWavesPerEU: 11
; NumVGPRsForWavesPerEU: 38
; AccumOffset: 40
; Occupancy: 8
; WaveLimiterHint : 0
; COMPUTE_PGM_RSRC2:SCRATCH_EN: 0
; COMPUTE_PGM_RSRC2:USER_SGPR: 6
; COMPUTE_PGM_RSRC2:TRAP_HANDLER: 0
; COMPUTE_PGM_RSRC2:TGID_X_EN: 1
; COMPUTE_PGM_RSRC2:TGID_Y_EN: 0
; COMPUTE_PGM_RSRC2:TGID_Z_EN: 0
; COMPUTE_PGM_RSRC2:TIDIG_COMP_CNT: 0
; COMPUTE_PGM_RSRC3_GFX90A:ACCUM_OFFSET: 9
; COMPUTE_PGM_RSRC3_GFX90A:TG_SPLIT: 0
	.section	.text._Z6kernelI2upfLj256ELj1ELj100EEvPKT0_PS1_,"axG",@progbits,_Z6kernelI2upfLj256ELj1ELj100EEvPKT0_PS1_,comdat
	.protected	_Z6kernelI2upfLj256ELj1ELj100EEvPKT0_PS1_ ; -- Begin function _Z6kernelI2upfLj256ELj1ELj100EEvPKT0_PS1_
	.globl	_Z6kernelI2upfLj256ELj1ELj100EEvPKT0_PS1_
	.p2align	8
	.type	_Z6kernelI2upfLj256ELj1ELj100EEvPKT0_PS1_,@function
_Z6kernelI2upfLj256ELj1ELj100EEvPKT0_PS1_: ; @_Z6kernelI2upfLj256ELj1ELj100EEvPKT0_PS1_
; %bb.0:
	s_load_dwordx4 s[0:3], s[4:5], 0x0
	v_lshl_or_b32 v2, s6, 8, v0
	v_mov_b32_e32 v3, 0
	v_lshlrev_b64 v[2:3], 2, v[2:3]
	s_movk_i32 s4, 0x64
	s_waitcnt lgkmcnt(0)
	v_mov_b32_e32 v1, s1
	v_add_co_u32_e32 v4, vcc, s0, v2
	v_addc_co_u32_e32 v5, vcc, v1, v3, vcc
	global_load_dword v1, v[4:5], off
	v_lshlrev_b32_e32 v4, 2, v0
	v_cmp_ne_u32_e32 vcc, 0, v0
	v_add_u32_e32 v0, -4, v4
	s_branch .LBB20_2
.LBB20_1:                               ;   in Loop: Header=BB20_2 Depth=1
	s_or_b64 exec, exec, s[0:1]
	s_add_i32 s4, s4, -1
	s_cmp_lg_u32 s4, 0
	s_waitcnt lgkmcnt(0)
	s_barrier
	s_cbranch_scc0 .LBB20_4
.LBB20_2:                               ; =>This Inner Loop Header: Depth=1
	s_waitcnt vmcnt(0)
	ds_write_b32 v4, v1
	s_waitcnt lgkmcnt(0)
	s_barrier
	s_and_saveexec_b64 s[0:1], vcc
	s_cbranch_execz .LBB20_1
; %bb.3:                                ;   in Loop: Header=BB20_2 Depth=1
	ds_read_b32 v1, v0
	s_branch .LBB20_1
.LBB20_4:
	v_mov_b32_e32 v0, s3
	v_add_co_u32_e32 v2, vcc, s2, v2
	v_addc_co_u32_e32 v3, vcc, v0, v3, vcc
	global_store_dword v[2:3], v1, off
	s_endpgm
	.section	.rodata,"a",@progbits
	.p2align	6, 0x0
	.amdhsa_kernel _Z6kernelI2upfLj256ELj1ELj100EEvPKT0_PS1_
		.amdhsa_group_segment_fixed_size 1024
		.amdhsa_private_segment_fixed_size 0
		.amdhsa_kernarg_size 16
		.amdhsa_user_sgpr_count 6
		.amdhsa_user_sgpr_private_segment_buffer 1
		.amdhsa_user_sgpr_dispatch_ptr 0
		.amdhsa_user_sgpr_queue_ptr 0
		.amdhsa_user_sgpr_kernarg_segment_ptr 1
		.amdhsa_user_sgpr_dispatch_id 0
		.amdhsa_user_sgpr_flat_scratch_init 0
		.amdhsa_user_sgpr_kernarg_preload_length 0
		.amdhsa_user_sgpr_kernarg_preload_offset 0
		.amdhsa_user_sgpr_private_segment_size 0
		.amdhsa_uses_dynamic_stack 0
		.amdhsa_system_sgpr_private_segment_wavefront_offset 0
		.amdhsa_system_sgpr_workgroup_id_x 1
		.amdhsa_system_sgpr_workgroup_id_y 0
		.amdhsa_system_sgpr_workgroup_id_z 0
		.amdhsa_system_sgpr_workgroup_info 0
		.amdhsa_system_vgpr_workitem_id 0
		.amdhsa_next_free_vgpr 6
		.amdhsa_next_free_sgpr 7
		.amdhsa_accum_offset 8
		.amdhsa_reserve_vcc 1
		.amdhsa_reserve_flat_scratch 0
		.amdhsa_float_round_mode_32 0
		.amdhsa_float_round_mode_16_64 0
		.amdhsa_float_denorm_mode_32 3
		.amdhsa_float_denorm_mode_16_64 3
		.amdhsa_dx10_clamp 1
		.amdhsa_ieee_mode 1
		.amdhsa_fp16_overflow 0
		.amdhsa_tg_split 0
		.amdhsa_exception_fp_ieee_invalid_op 0
		.amdhsa_exception_fp_denorm_src 0
		.amdhsa_exception_fp_ieee_div_zero 0
		.amdhsa_exception_fp_ieee_overflow 0
		.amdhsa_exception_fp_ieee_underflow 0
		.amdhsa_exception_fp_ieee_inexact 0
		.amdhsa_exception_int_div_zero 0
	.end_amdhsa_kernel
	.section	.text._Z6kernelI2upfLj256ELj1ELj100EEvPKT0_PS1_,"axG",@progbits,_Z6kernelI2upfLj256ELj1ELj100EEvPKT0_PS1_,comdat
.Lfunc_end20:
	.size	_Z6kernelI2upfLj256ELj1ELj100EEvPKT0_PS1_, .Lfunc_end20-_Z6kernelI2upfLj256ELj1ELj100EEvPKT0_PS1_
                                        ; -- End function
	.section	.AMDGPU.csdata,"",@progbits
; Kernel info:
; codeLenInByte = 160
; NumSgprs: 11
; NumVgprs: 6
; NumAgprs: 0
; TotalNumVgprs: 6
; ScratchSize: 0
; MemoryBound: 0
; FloatMode: 240
; IeeeMode: 1
; LDSByteSize: 1024 bytes/workgroup (compile time only)
; SGPRBlocks: 1
; VGPRBlocks: 0
; NumSGPRsForWavesPerEU: 11
; NumVGPRsForWavesPerEU: 6
; AccumOffset: 8
; Occupancy: 8
; WaveLimiterHint : 0
; COMPUTE_PGM_RSRC2:SCRATCH_EN: 0
; COMPUTE_PGM_RSRC2:USER_SGPR: 6
; COMPUTE_PGM_RSRC2:TRAP_HANDLER: 0
; COMPUTE_PGM_RSRC2:TGID_X_EN: 1
; COMPUTE_PGM_RSRC2:TGID_Y_EN: 0
; COMPUTE_PGM_RSRC2:TGID_Z_EN: 0
; COMPUTE_PGM_RSRC2:TIDIG_COMP_CNT: 0
; COMPUTE_PGM_RSRC3_GFX90A:ACCUM_OFFSET: 1
; COMPUTE_PGM_RSRC3_GFX90A:TG_SPLIT: 0
	.section	.text._Z6kernelI2upfLj256ELj3ELj100EEvPKT0_PS1_,"axG",@progbits,_Z6kernelI2upfLj256ELj3ELj100EEvPKT0_PS1_,comdat
	.protected	_Z6kernelI2upfLj256ELj3ELj100EEvPKT0_PS1_ ; -- Begin function _Z6kernelI2upfLj256ELj3ELj100EEvPKT0_PS1_
	.globl	_Z6kernelI2upfLj256ELj3ELj100EEvPKT0_PS1_
	.p2align	8
	.type	_Z6kernelI2upfLj256ELj3ELj100EEvPKT0_PS1_,@function
_Z6kernelI2upfLj256ELj3ELj100EEvPKT0_PS1_: ; @_Z6kernelI2upfLj256ELj3ELj100EEvPKT0_PS1_
; %bb.0:
	s_load_dwordx4 s[0:3], s[4:5], 0x0
	v_lshl_or_b32 v1, s6, 8, v0
	v_lshl_add_u32 v6, v1, 1, v1
	v_mov_b32_e32 v7, 0
	v_lshlrev_b64 v[2:3], 2, v[6:7]
	s_waitcnt lgkmcnt(0)
	v_mov_b32_e32 v1, s1
	v_add_co_u32_e32 v12, vcc, s0, v2
	v_add_u32_e32 v4, 1, v6
	v_mov_b32_e32 v5, v7
	v_addc_co_u32_e32 v13, vcc, v1, v3, vcc
	v_lshlrev_b64 v[4:5], 2, v[4:5]
	v_add_co_u32_e32 v14, vcc, s0, v4
	v_add_u32_e32 v6, 2, v6
	v_addc_co_u32_e32 v15, vcc, v1, v5, vcc
	v_lshlrev_b64 v[6:7], 2, v[6:7]
	v_add_co_u32_e32 v16, vcc, s0, v6
	v_addc_co_u32_e32 v17, vcc, v1, v7, vcc
	global_load_dword v8, v[12:13], off
	global_load_dword v1, v[14:15], off
	;; [unrolled: 1-line block ×3, first 2 shown]
	v_lshlrev_b32_e32 v9, 2, v0
	v_cmp_ne_u32_e32 vcc, 0, v0
	v_add_u32_e32 v10, -4, v9
	s_movk_i32 s4, 0x64
.LBB21_1:                               ; =>This Inner Loop Header: Depth=1
	s_waitcnt vmcnt(1)
	v_mov_b32_e32 v0, v1
	v_mov_b32_e32 v1, v8
	s_waitcnt vmcnt(0)
	ds_write_b32 v9, v11
	s_waitcnt lgkmcnt(0)
	s_barrier
	s_and_saveexec_b64 s[0:1], vcc
	s_cbranch_execz .LBB21_3
; %bb.2:                                ;   in Loop: Header=BB21_1 Depth=1
	ds_read_b32 v8, v10
.LBB21_3:                               ;   in Loop: Header=BB21_1 Depth=1
	s_or_b64 exec, exec, s[0:1]
	s_add_i32 s4, s4, -1
	s_cmp_lg_u32 s4, 0
	s_waitcnt lgkmcnt(0)
	s_barrier
	s_cbranch_scc0 .LBB21_5
; %bb.4:                                ;   in Loop: Header=BB21_1 Depth=1
	v_mov_b32_e32 v11, v0
	s_branch .LBB21_1
.LBB21_5:
	v_mov_b32_e32 v9, s3
	v_add_co_u32_e32 v2, vcc, s2, v2
	v_addc_co_u32_e32 v3, vcc, v9, v3, vcc
	global_store_dword v[2:3], v8, off
	v_mov_b32_e32 v3, s3
	v_add_co_u32_e32 v2, vcc, s2, v4
	v_addc_co_u32_e32 v3, vcc, v3, v5, vcc
	global_store_dword v[2:3], v1, off
	;; [unrolled: 4-line block ×3, first 2 shown]
	s_endpgm
	.section	.rodata,"a",@progbits
	.p2align	6, 0x0
	.amdhsa_kernel _Z6kernelI2upfLj256ELj3ELj100EEvPKT0_PS1_
		.amdhsa_group_segment_fixed_size 1024
		.amdhsa_private_segment_fixed_size 0
		.amdhsa_kernarg_size 16
		.amdhsa_user_sgpr_count 6
		.amdhsa_user_sgpr_private_segment_buffer 1
		.amdhsa_user_sgpr_dispatch_ptr 0
		.amdhsa_user_sgpr_queue_ptr 0
		.amdhsa_user_sgpr_kernarg_segment_ptr 1
		.amdhsa_user_sgpr_dispatch_id 0
		.amdhsa_user_sgpr_flat_scratch_init 0
		.amdhsa_user_sgpr_kernarg_preload_length 0
		.amdhsa_user_sgpr_kernarg_preload_offset 0
		.amdhsa_user_sgpr_private_segment_size 0
		.amdhsa_uses_dynamic_stack 0
		.amdhsa_system_sgpr_private_segment_wavefront_offset 0
		.amdhsa_system_sgpr_workgroup_id_x 1
		.amdhsa_system_sgpr_workgroup_id_y 0
		.amdhsa_system_sgpr_workgroup_id_z 0
		.amdhsa_system_sgpr_workgroup_info 0
		.amdhsa_system_vgpr_workitem_id 0
		.amdhsa_next_free_vgpr 18
		.amdhsa_next_free_sgpr 7
		.amdhsa_accum_offset 20
		.amdhsa_reserve_vcc 1
		.amdhsa_reserve_flat_scratch 0
		.amdhsa_float_round_mode_32 0
		.amdhsa_float_round_mode_16_64 0
		.amdhsa_float_denorm_mode_32 3
		.amdhsa_float_denorm_mode_16_64 3
		.amdhsa_dx10_clamp 1
		.amdhsa_ieee_mode 1
		.amdhsa_fp16_overflow 0
		.amdhsa_tg_split 0
		.amdhsa_exception_fp_ieee_invalid_op 0
		.amdhsa_exception_fp_denorm_src 0
		.amdhsa_exception_fp_ieee_div_zero 0
		.amdhsa_exception_fp_ieee_overflow 0
		.amdhsa_exception_fp_ieee_underflow 0
		.amdhsa_exception_fp_ieee_inexact 0
		.amdhsa_exception_int_div_zero 0
	.end_amdhsa_kernel
	.section	.text._Z6kernelI2upfLj256ELj3ELj100EEvPKT0_PS1_,"axG",@progbits,_Z6kernelI2upfLj256ELj3ELj100EEvPKT0_PS1_,comdat
.Lfunc_end21:
	.size	_Z6kernelI2upfLj256ELj3ELj100EEvPKT0_PS1_, .Lfunc_end21-_Z6kernelI2upfLj256ELj3ELj100EEvPKT0_PS1_
                                        ; -- End function
	.section	.AMDGPU.csdata,"",@progbits
; Kernel info:
; codeLenInByte = 280
; NumSgprs: 11
; NumVgprs: 18
; NumAgprs: 0
; TotalNumVgprs: 18
; ScratchSize: 0
; MemoryBound: 0
; FloatMode: 240
; IeeeMode: 1
; LDSByteSize: 1024 bytes/workgroup (compile time only)
; SGPRBlocks: 1
; VGPRBlocks: 2
; NumSGPRsForWavesPerEU: 11
; NumVGPRsForWavesPerEU: 18
; AccumOffset: 20
; Occupancy: 8
; WaveLimiterHint : 0
; COMPUTE_PGM_RSRC2:SCRATCH_EN: 0
; COMPUTE_PGM_RSRC2:USER_SGPR: 6
; COMPUTE_PGM_RSRC2:TRAP_HANDLER: 0
; COMPUTE_PGM_RSRC2:TGID_X_EN: 1
; COMPUTE_PGM_RSRC2:TGID_Y_EN: 0
; COMPUTE_PGM_RSRC2:TGID_Z_EN: 0
; COMPUTE_PGM_RSRC2:TIDIG_COMP_CNT: 0
; COMPUTE_PGM_RSRC3_GFX90A:ACCUM_OFFSET: 4
; COMPUTE_PGM_RSRC3_GFX90A:TG_SPLIT: 0
	.section	.text._Z6kernelI2upfLj256ELj4ELj100EEvPKT0_PS1_,"axG",@progbits,_Z6kernelI2upfLj256ELj4ELj100EEvPKT0_PS1_,comdat
	.protected	_Z6kernelI2upfLj256ELj4ELj100EEvPKT0_PS1_ ; -- Begin function _Z6kernelI2upfLj256ELj4ELj100EEvPKT0_PS1_
	.globl	_Z6kernelI2upfLj256ELj4ELj100EEvPKT0_PS1_
	.p2align	8
	.type	_Z6kernelI2upfLj256ELj4ELj100EEvPKT0_PS1_,@function
_Z6kernelI2upfLj256ELj4ELj100EEvPKT0_PS1_: ; @_Z6kernelI2upfLj256ELj4ELj100EEvPKT0_PS1_
; %bb.0:
	s_load_dwordx4 s[0:3], s[4:5], 0x0
	v_lshlrev_b32_e32 v1, 2, v0
	v_lshl_or_b32 v2, s6, 10, v1
	v_mov_b32_e32 v3, 0
	v_lshlrev_b64 v[10:11], 2, v[2:3]
	s_waitcnt lgkmcnt(0)
	v_mov_b32_e32 v3, s1
	v_add_co_u32_e32 v2, vcc, s0, v10
	v_addc_co_u32_e32 v3, vcc, v3, v11, vcc
	global_load_dwordx4 v[2:5], v[2:3], off
	v_cmp_ne_u32_e32 vcc, 0, v0
	v_add_u32_e32 v12, -4, v1
	s_movk_i32 s4, 0x64
	s_waitcnt vmcnt(0)
	v_mov_b32_e32 v0, v3
.LBB22_1:                               ; =>This Inner Loop Header: Depth=1
	v_mov_b32_e32 v3, v4
	v_mov_b32_e32 v4, v0
	;; [unrolled: 1-line block ×3, first 2 shown]
	v_pk_mov_b32 v[8:9], v[2:3], v[2:3] op_sel:[0,1]
	v_pk_mov_b32 v[6:7], v[0:1], v[0:1] op_sel:[0,1]
	ds_write_b32 v1, v5
	s_waitcnt lgkmcnt(0)
	s_barrier
	s_and_saveexec_b64 s[0:1], vcc
	s_cbranch_execz .LBB22_3
; %bb.2:                                ;   in Loop: Header=BB22_1 Depth=1
	ds_read_b32 v6, v12
	s_waitcnt lgkmcnt(0)
	v_mov_b32_e32 v2, v6
.LBB22_3:                               ;   in Loop: Header=BB22_1 Depth=1
	s_or_b64 exec, exec, s[0:1]
	s_add_i32 s4, s4, -1
	s_cmp_lg_u32 s4, 0
	s_barrier
	s_cbranch_scc0 .LBB22_5
; %bb.4:                                ;   in Loop: Header=BB22_1 Depth=1
	v_mov_b32_e32 v5, v3
	s_branch .LBB22_1
.LBB22_5:
	v_mov_b32_e32 v7, v0
	v_mov_b32_e32 v1, s3
	v_add_co_u32_e32 v0, vcc, s2, v10
	v_mov_b32_e32 v8, v4
	v_mov_b32_e32 v9, v3
	v_addc_co_u32_e32 v1, vcc, v1, v11, vcc
	global_store_dwordx4 v[0:1], v[6:9], off
	s_endpgm
	.section	.rodata,"a",@progbits
	.p2align	6, 0x0
	.amdhsa_kernel _Z6kernelI2upfLj256ELj4ELj100EEvPKT0_PS1_
		.amdhsa_group_segment_fixed_size 1024
		.amdhsa_private_segment_fixed_size 0
		.amdhsa_kernarg_size 16
		.amdhsa_user_sgpr_count 6
		.amdhsa_user_sgpr_private_segment_buffer 1
		.amdhsa_user_sgpr_dispatch_ptr 0
		.amdhsa_user_sgpr_queue_ptr 0
		.amdhsa_user_sgpr_kernarg_segment_ptr 1
		.amdhsa_user_sgpr_dispatch_id 0
		.amdhsa_user_sgpr_flat_scratch_init 0
		.amdhsa_user_sgpr_kernarg_preload_length 0
		.amdhsa_user_sgpr_kernarg_preload_offset 0
		.amdhsa_user_sgpr_private_segment_size 0
		.amdhsa_uses_dynamic_stack 0
		.amdhsa_system_sgpr_private_segment_wavefront_offset 0
		.amdhsa_system_sgpr_workgroup_id_x 1
		.amdhsa_system_sgpr_workgroup_id_y 0
		.amdhsa_system_sgpr_workgroup_id_z 0
		.amdhsa_system_sgpr_workgroup_info 0
		.amdhsa_system_vgpr_workitem_id 0
		.amdhsa_next_free_vgpr 13
		.amdhsa_next_free_sgpr 7
		.amdhsa_accum_offset 16
		.amdhsa_reserve_vcc 1
		.amdhsa_reserve_flat_scratch 0
		.amdhsa_float_round_mode_32 0
		.amdhsa_float_round_mode_16_64 0
		.amdhsa_float_denorm_mode_32 3
		.amdhsa_float_denorm_mode_16_64 3
		.amdhsa_dx10_clamp 1
		.amdhsa_ieee_mode 1
		.amdhsa_fp16_overflow 0
		.amdhsa_tg_split 0
		.amdhsa_exception_fp_ieee_invalid_op 0
		.amdhsa_exception_fp_denorm_src 0
		.amdhsa_exception_fp_ieee_div_zero 0
		.amdhsa_exception_fp_ieee_overflow 0
		.amdhsa_exception_fp_ieee_underflow 0
		.amdhsa_exception_fp_ieee_inexact 0
		.amdhsa_exception_int_div_zero 0
	.end_amdhsa_kernel
	.section	.text._Z6kernelI2upfLj256ELj4ELj100EEvPKT0_PS1_,"axG",@progbits,_Z6kernelI2upfLj256ELj4ELj100EEvPKT0_PS1_,comdat
.Lfunc_end22:
	.size	_Z6kernelI2upfLj256ELj4ELj100EEvPKT0_PS1_, .Lfunc_end22-_Z6kernelI2upfLj256ELj4ELj100EEvPKT0_PS1_
                                        ; -- End function
	.section	.AMDGPU.csdata,"",@progbits
; Kernel info:
; codeLenInByte = 208
; NumSgprs: 11
; NumVgprs: 13
; NumAgprs: 0
; TotalNumVgprs: 13
; ScratchSize: 0
; MemoryBound: 0
; FloatMode: 240
; IeeeMode: 1
; LDSByteSize: 1024 bytes/workgroup (compile time only)
; SGPRBlocks: 1
; VGPRBlocks: 1
; NumSGPRsForWavesPerEU: 11
; NumVGPRsForWavesPerEU: 13
; AccumOffset: 16
; Occupancy: 8
; WaveLimiterHint : 0
; COMPUTE_PGM_RSRC2:SCRATCH_EN: 0
; COMPUTE_PGM_RSRC2:USER_SGPR: 6
; COMPUTE_PGM_RSRC2:TRAP_HANDLER: 0
; COMPUTE_PGM_RSRC2:TGID_X_EN: 1
; COMPUTE_PGM_RSRC2:TGID_Y_EN: 0
; COMPUTE_PGM_RSRC2:TGID_Z_EN: 0
; COMPUTE_PGM_RSRC2:TIDIG_COMP_CNT: 0
; COMPUTE_PGM_RSRC3_GFX90A:ACCUM_OFFSET: 3
; COMPUTE_PGM_RSRC3_GFX90A:TG_SPLIT: 0
	.section	.text._Z6kernelI2upfLj256ELj8ELj100EEvPKT0_PS1_,"axG",@progbits,_Z6kernelI2upfLj256ELj8ELj100EEvPKT0_PS1_,comdat
	.protected	_Z6kernelI2upfLj256ELj8ELj100EEvPKT0_PS1_ ; -- Begin function _Z6kernelI2upfLj256ELj8ELj100EEvPKT0_PS1_
	.globl	_Z6kernelI2upfLj256ELj8ELj100EEvPKT0_PS1_
	.p2align	8
	.type	_Z6kernelI2upfLj256ELj8ELj100EEvPKT0_PS1_,@function
_Z6kernelI2upfLj256ELj8ELj100EEvPKT0_PS1_: ; @_Z6kernelI2upfLj256ELj8ELj100EEvPKT0_PS1_
; %bb.0:
	s_load_dwordx4 s[0:3], s[4:5], 0x0
	v_lshlrev_b32_e32 v1, 3, v0
	v_lshl_or_b32 v2, s6, 11, v1
	v_mov_b32_e32 v3, 0
	v_lshlrev_b64 v[18:19], 2, v[2:3]
	s_waitcnt lgkmcnt(0)
	v_mov_b32_e32 v1, s1
	v_add_co_u32_e32 v2, vcc, s0, v18
	v_addc_co_u32_e32 v3, vcc, v1, v19, vcc
	global_load_dwordx4 v[14:17], v[2:3], off
	global_load_dwordx4 v[10:13], v[2:3], off offset:16
	v_lshlrev_b32_e32 v20, 2, v0
	v_cmp_ne_u32_e32 vcc, 0, v0
	v_add_u32_e32 v21, -4, v20
	s_movk_i32 s4, 0x64
	s_waitcnt vmcnt(1)
	v_mov_b32_e32 v0, v15
.LBB23_1:                               ; =>This Inner Loop Header: Depth=1
	s_waitcnt vmcnt(0)
	v_mov_b32_e32 v1, v12
	v_mov_b32_e32 v12, v11
	;; [unrolled: 1-line block ×7, first 2 shown]
	v_pk_mov_b32 v[8:9], v[6:7], v[6:7] op_sel:[0,1]
	v_pk_mov_b32 v[6:7], v[4:5], v[4:5] op_sel:[0,1]
	;; [unrolled: 1-line block ×4, first 2 shown]
	ds_write_b32 v20, v13
	s_waitcnt lgkmcnt(0)
	s_barrier
	s_and_saveexec_b64 s[0:1], vcc
	s_cbranch_execz .LBB23_3
; %bb.2:                                ;   in Loop: Header=BB23_1 Depth=1
	ds_read_b32 v2, v21
	s_waitcnt lgkmcnt(0)
	v_mov_b32_e32 v14, v2
.LBB23_3:                               ;   in Loop: Header=BB23_1 Depth=1
	s_or_b64 exec, exec, s[0:1]
	s_add_i32 s4, s4, -1
	s_cmp_lg_u32 s4, 0
	s_barrier
	s_cbranch_scc0 .LBB23_5
; %bb.4:                                ;   in Loop: Header=BB23_1 Depth=1
	v_mov_b32_e32 v13, v1
	s_branch .LBB23_1
.LBB23_5:
	v_mov_b32_e32 v3, s3
	v_add_co_u32_e32 v6, vcc, s2, v18
	v_addc_co_u32_e32 v7, vcc, v3, v19, vcc
	v_mov_b32_e32 v3, v0
	v_mov_b32_e32 v4, v16
	;; [unrolled: 1-line block ×4, first 2 shown]
	global_store_dwordx4 v[6:7], v[2:5], off
	global_store_dwordx4 v[6:7], v[10:13], off offset:16
	s_endpgm
	.section	.rodata,"a",@progbits
	.p2align	6, 0x0
	.amdhsa_kernel _Z6kernelI2upfLj256ELj8ELj100EEvPKT0_PS1_
		.amdhsa_group_segment_fixed_size 1024
		.amdhsa_private_segment_fixed_size 0
		.amdhsa_kernarg_size 16
		.amdhsa_user_sgpr_count 6
		.amdhsa_user_sgpr_private_segment_buffer 1
		.amdhsa_user_sgpr_dispatch_ptr 0
		.amdhsa_user_sgpr_queue_ptr 0
		.amdhsa_user_sgpr_kernarg_segment_ptr 1
		.amdhsa_user_sgpr_dispatch_id 0
		.amdhsa_user_sgpr_flat_scratch_init 0
		.amdhsa_user_sgpr_kernarg_preload_length 0
		.amdhsa_user_sgpr_kernarg_preload_offset 0
		.amdhsa_user_sgpr_private_segment_size 0
		.amdhsa_uses_dynamic_stack 0
		.amdhsa_system_sgpr_private_segment_wavefront_offset 0
		.amdhsa_system_sgpr_workgroup_id_x 1
		.amdhsa_system_sgpr_workgroup_id_y 0
		.amdhsa_system_sgpr_workgroup_id_z 0
		.amdhsa_system_sgpr_workgroup_info 0
		.amdhsa_system_vgpr_workitem_id 0
		.amdhsa_next_free_vgpr 22
		.amdhsa_next_free_sgpr 7
		.amdhsa_accum_offset 24
		.amdhsa_reserve_vcc 1
		.amdhsa_reserve_flat_scratch 0
		.amdhsa_float_round_mode_32 0
		.amdhsa_float_round_mode_16_64 0
		.amdhsa_float_denorm_mode_32 3
		.amdhsa_float_denorm_mode_16_64 3
		.amdhsa_dx10_clamp 1
		.amdhsa_ieee_mode 1
		.amdhsa_fp16_overflow 0
		.amdhsa_tg_split 0
		.amdhsa_exception_fp_ieee_invalid_op 0
		.amdhsa_exception_fp_denorm_src 0
		.amdhsa_exception_fp_ieee_div_zero 0
		.amdhsa_exception_fp_ieee_overflow 0
		.amdhsa_exception_fp_ieee_underflow 0
		.amdhsa_exception_fp_ieee_inexact 0
		.amdhsa_exception_int_div_zero 0
	.end_amdhsa_kernel
	.section	.text._Z6kernelI2upfLj256ELj8ELj100EEvPKT0_PS1_,"axG",@progbits,_Z6kernelI2upfLj256ELj8ELj100EEvPKT0_PS1_,comdat
.Lfunc_end23:
	.size	_Z6kernelI2upfLj256ELj8ELj100EEvPKT0_PS1_, .Lfunc_end23-_Z6kernelI2upfLj256ELj8ELj100EEvPKT0_PS1_
                                        ; -- End function
	.section	.AMDGPU.csdata,"",@progbits
; Kernel info:
; codeLenInByte = 268
; NumSgprs: 11
; NumVgprs: 22
; NumAgprs: 0
; TotalNumVgprs: 22
; ScratchSize: 0
; MemoryBound: 0
; FloatMode: 240
; IeeeMode: 1
; LDSByteSize: 1024 bytes/workgroup (compile time only)
; SGPRBlocks: 1
; VGPRBlocks: 2
; NumSGPRsForWavesPerEU: 11
; NumVGPRsForWavesPerEU: 22
; AccumOffset: 24
; Occupancy: 8
; WaveLimiterHint : 0
; COMPUTE_PGM_RSRC2:SCRATCH_EN: 0
; COMPUTE_PGM_RSRC2:USER_SGPR: 6
; COMPUTE_PGM_RSRC2:TRAP_HANDLER: 0
; COMPUTE_PGM_RSRC2:TGID_X_EN: 1
; COMPUTE_PGM_RSRC2:TGID_Y_EN: 0
; COMPUTE_PGM_RSRC2:TGID_Z_EN: 0
; COMPUTE_PGM_RSRC2:TIDIG_COMP_CNT: 0
; COMPUTE_PGM_RSRC3_GFX90A:ACCUM_OFFSET: 5
; COMPUTE_PGM_RSRC3_GFX90A:TG_SPLIT: 0
	.section	.text._Z6kernelI2upfLj256ELj16ELj100EEvPKT0_PS1_,"axG",@progbits,_Z6kernelI2upfLj256ELj16ELj100EEvPKT0_PS1_,comdat
	.protected	_Z6kernelI2upfLj256ELj16ELj100EEvPKT0_PS1_ ; -- Begin function _Z6kernelI2upfLj256ELj16ELj100EEvPKT0_PS1_
	.globl	_Z6kernelI2upfLj256ELj16ELj100EEvPKT0_PS1_
	.p2align	8
	.type	_Z6kernelI2upfLj256ELj16ELj100EEvPKT0_PS1_,@function
_Z6kernelI2upfLj256ELj16ELj100EEvPKT0_PS1_: ; @_Z6kernelI2upfLj256ELj16ELj100EEvPKT0_PS1_
; %bb.0:
	s_load_dwordx4 s[0:3], s[4:5], 0x0
	v_lshlrev_b32_e32 v1, 4, v0
	v_lshl_or_b32 v2, s6, 12, v1
	v_mov_b32_e32 v3, 0
	v_lshlrev_b64 v[18:19], 2, v[2:3]
	s_waitcnt lgkmcnt(0)
	v_mov_b32_e32 v1, s1
	v_add_co_u32_e32 v20, vcc, s0, v18
	v_addc_co_u32_e32 v21, vcc, v1, v19, vcc
	global_load_dwordx4 v[2:5], v[20:21], off
	global_load_dwordx4 v[6:9], v[20:21], off offset:16
	global_load_dwordx4 v[10:13], v[20:21], off offset:32
	;; [unrolled: 1-line block ×3, first 2 shown]
	v_lshlrev_b32_e32 v1, 2, v0
	v_cmp_ne_u32_e32 vcc, 0, v0
	v_add_u32_e32 v20, -4, v1
	s_movk_i32 s4, 0x64
.LBB24_1:                               ; =>This Inner Loop Header: Depth=1
	s_waitcnt vmcnt(0)
	v_mov_b32_e32 v0, v16
	v_mov_b32_e32 v16, v15
	;; [unrolled: 1-line block ×15, first 2 shown]
	ds_write_b32 v1, v17
	s_waitcnt lgkmcnt(0)
	s_barrier
	s_and_saveexec_b64 s[0:1], vcc
	s_cbranch_execz .LBB24_3
; %bb.2:                                ;   in Loop: Header=BB24_1 Depth=1
	ds_read_b32 v2, v20
.LBB24_3:                               ;   in Loop: Header=BB24_1 Depth=1
	s_or_b64 exec, exec, s[0:1]
	s_add_i32 s4, s4, -1
	s_cmp_lg_u32 s4, 0
	s_waitcnt lgkmcnt(0)
	s_barrier
	s_cbranch_scc0 .LBB24_5
; %bb.4:                                ;   in Loop: Header=BB24_1 Depth=1
	v_mov_b32_e32 v17, v0
	s_branch .LBB24_1
.LBB24_5:
	v_mov_b32_e32 v1, s3
	v_add_co_u32_e32 v18, vcc, s2, v18
	v_addc_co_u32_e32 v19, vcc, v1, v19, vcc
	global_store_dwordx3 v[18:19], v[2:4], off
	s_nop 0
	v_mov_b32_e32 v2, v5
	v_mov_b32_e32 v3, v6
	v_mov_b32_e32 v4, v7
	v_mov_b32_e32 v5, v8
	global_store_dwordx4 v[18:19], v[2:5], off offset:12
	s_nop 0
	v_mov_b32_e32 v2, v9
	v_mov_b32_e32 v3, v10
	v_mov_b32_e32 v4, v11
	v_mov_b32_e32 v5, v12
	global_store_dwordx4 v[18:19], v[2:5], off offset:28
	;; [unrolled: 6-line block ×3, first 2 shown]
	global_store_dword v[18:19], v0, off offset:60
	s_endpgm
	.section	.rodata,"a",@progbits
	.p2align	6, 0x0
	.amdhsa_kernel _Z6kernelI2upfLj256ELj16ELj100EEvPKT0_PS1_
		.amdhsa_group_segment_fixed_size 1024
		.amdhsa_private_segment_fixed_size 0
		.amdhsa_kernarg_size 16
		.amdhsa_user_sgpr_count 6
		.amdhsa_user_sgpr_private_segment_buffer 1
		.amdhsa_user_sgpr_dispatch_ptr 0
		.amdhsa_user_sgpr_queue_ptr 0
		.amdhsa_user_sgpr_kernarg_segment_ptr 1
		.amdhsa_user_sgpr_dispatch_id 0
		.amdhsa_user_sgpr_flat_scratch_init 0
		.amdhsa_user_sgpr_kernarg_preload_length 0
		.amdhsa_user_sgpr_kernarg_preload_offset 0
		.amdhsa_user_sgpr_private_segment_size 0
		.amdhsa_uses_dynamic_stack 0
		.amdhsa_system_sgpr_private_segment_wavefront_offset 0
		.amdhsa_system_sgpr_workgroup_id_x 1
		.amdhsa_system_sgpr_workgroup_id_y 0
		.amdhsa_system_sgpr_workgroup_id_z 0
		.amdhsa_system_sgpr_workgroup_info 0
		.amdhsa_system_vgpr_workitem_id 0
		.amdhsa_next_free_vgpr 22
		.amdhsa_next_free_sgpr 7
		.amdhsa_accum_offset 24
		.amdhsa_reserve_vcc 1
		.amdhsa_reserve_flat_scratch 0
		.amdhsa_float_round_mode_32 0
		.amdhsa_float_round_mode_16_64 0
		.amdhsa_float_denorm_mode_32 3
		.amdhsa_float_denorm_mode_16_64 3
		.amdhsa_dx10_clamp 1
		.amdhsa_ieee_mode 1
		.amdhsa_fp16_overflow 0
		.amdhsa_tg_split 0
		.amdhsa_exception_fp_ieee_invalid_op 0
		.amdhsa_exception_fp_denorm_src 0
		.amdhsa_exception_fp_ieee_div_zero 0
		.amdhsa_exception_fp_ieee_overflow 0
		.amdhsa_exception_fp_ieee_underflow 0
		.amdhsa_exception_fp_ieee_inexact 0
		.amdhsa_exception_int_div_zero 0
	.end_amdhsa_kernel
	.section	.text._Z6kernelI2upfLj256ELj16ELj100EEvPKT0_PS1_,"axG",@progbits,_Z6kernelI2upfLj256ELj16ELj100EEvPKT0_PS1_,comdat
.Lfunc_end24:
	.size	_Z6kernelI2upfLj256ELj16ELj100EEvPKT0_PS1_, .Lfunc_end24-_Z6kernelI2upfLj256ELj16ELj100EEvPKT0_PS1_
                                        ; -- End function
	.section	.AMDGPU.csdata,"",@progbits
; Kernel info:
; codeLenInByte = 340
; NumSgprs: 11
; NumVgprs: 22
; NumAgprs: 0
; TotalNumVgprs: 22
; ScratchSize: 0
; MemoryBound: 0
; FloatMode: 240
; IeeeMode: 1
; LDSByteSize: 1024 bytes/workgroup (compile time only)
; SGPRBlocks: 1
; VGPRBlocks: 2
; NumSGPRsForWavesPerEU: 11
; NumVGPRsForWavesPerEU: 22
; AccumOffset: 24
; Occupancy: 8
; WaveLimiterHint : 0
; COMPUTE_PGM_RSRC2:SCRATCH_EN: 0
; COMPUTE_PGM_RSRC2:USER_SGPR: 6
; COMPUTE_PGM_RSRC2:TRAP_HANDLER: 0
; COMPUTE_PGM_RSRC2:TGID_X_EN: 1
; COMPUTE_PGM_RSRC2:TGID_Y_EN: 0
; COMPUTE_PGM_RSRC2:TGID_Z_EN: 0
; COMPUTE_PGM_RSRC2:TIDIG_COMP_CNT: 0
; COMPUTE_PGM_RSRC3_GFX90A:ACCUM_OFFSET: 5
; COMPUTE_PGM_RSRC3_GFX90A:TG_SPLIT: 0
	.section	.text._Z6kernelI2upfLj256ELj32ELj100EEvPKT0_PS1_,"axG",@progbits,_Z6kernelI2upfLj256ELj32ELj100EEvPKT0_PS1_,comdat
	.protected	_Z6kernelI2upfLj256ELj32ELj100EEvPKT0_PS1_ ; -- Begin function _Z6kernelI2upfLj256ELj32ELj100EEvPKT0_PS1_
	.globl	_Z6kernelI2upfLj256ELj32ELj100EEvPKT0_PS1_
	.p2align	8
	.type	_Z6kernelI2upfLj256ELj32ELj100EEvPKT0_PS1_,@function
_Z6kernelI2upfLj256ELj32ELj100EEvPKT0_PS1_: ; @_Z6kernelI2upfLj256ELj32ELj100EEvPKT0_PS1_
; %bb.0:
	s_load_dwordx4 s[0:3], s[4:5], 0x0
	v_lshlrev_b32_e32 v1, 5, v0
	v_lshl_or_b32 v2, s6, 13, v1
	v_mov_b32_e32 v3, 0
	v_lshlrev_b64 v[34:35], 2, v[2:3]
	s_waitcnt lgkmcnt(0)
	v_mov_b32_e32 v1, s1
	v_add_co_u32_e32 v36, vcc, s0, v34
	v_addc_co_u32_e32 v37, vcc, v1, v35, vcc
	global_load_dwordx4 v[2:5], v[36:37], off
	global_load_dwordx4 v[6:9], v[36:37], off offset:16
	global_load_dwordx4 v[10:13], v[36:37], off offset:32
	global_load_dwordx4 v[14:17], v[36:37], off offset:48
	global_load_dwordx4 v[18:21], v[36:37], off offset:64
	global_load_dwordx4 v[22:25], v[36:37], off offset:80
	global_load_dwordx4 v[26:29], v[36:37], off offset:96
	global_load_dwordx4 v[30:33], v[36:37], off offset:112
	v_lshlrev_b32_e32 v1, 2, v0
	v_cmp_ne_u32_e32 vcc, 0, v0
	v_add_u32_e32 v36, -4, v1
	s_movk_i32 s4, 0x64
.LBB25_1:                               ; =>This Inner Loop Header: Depth=1
	s_waitcnt vmcnt(0)
	v_mov_b32_e32 v0, v32
	v_mov_b32_e32 v32, v31
	;; [unrolled: 1-line block ×31, first 2 shown]
	ds_write_b32 v1, v33
	s_waitcnt lgkmcnt(0)
	s_barrier
	s_and_saveexec_b64 s[0:1], vcc
	s_cbranch_execz .LBB25_3
; %bb.2:                                ;   in Loop: Header=BB25_1 Depth=1
	ds_read_b32 v2, v36
.LBB25_3:                               ;   in Loop: Header=BB25_1 Depth=1
	s_or_b64 exec, exec, s[0:1]
	s_add_i32 s4, s4, -1
	s_cmp_lg_u32 s4, 0
	s_waitcnt lgkmcnt(0)
	s_barrier
	s_cbranch_scc0 .LBB25_5
; %bb.4:                                ;   in Loop: Header=BB25_1 Depth=1
	v_mov_b32_e32 v33, v0
	s_branch .LBB25_1
.LBB25_5:
	v_mov_b32_e32 v1, s3
	v_add_co_u32_e32 v34, vcc, s2, v34
	v_addc_co_u32_e32 v35, vcc, v1, v35, vcc
	global_store_dwordx3 v[34:35], v[2:4], off
	s_nop 0
	v_mov_b32_e32 v2, v5
	v_mov_b32_e32 v3, v6
	v_mov_b32_e32 v4, v7
	v_mov_b32_e32 v5, v8
	global_store_dwordx4 v[34:35], v[2:5], off offset:12
	s_nop 0
	v_mov_b32_e32 v2, v9
	v_mov_b32_e32 v3, v10
	v_mov_b32_e32 v4, v11
	v_mov_b32_e32 v5, v12
	global_store_dwordx4 v[34:35], v[2:5], off offset:28
	;; [unrolled: 6-line block ×7, first 2 shown]
	global_store_dword v[34:35], v0, off offset:124
	s_endpgm
	.section	.rodata,"a",@progbits
	.p2align	6, 0x0
	.amdhsa_kernel _Z6kernelI2upfLj256ELj32ELj100EEvPKT0_PS1_
		.amdhsa_group_segment_fixed_size 1024
		.amdhsa_private_segment_fixed_size 0
		.amdhsa_kernarg_size 16
		.amdhsa_user_sgpr_count 6
		.amdhsa_user_sgpr_private_segment_buffer 1
		.amdhsa_user_sgpr_dispatch_ptr 0
		.amdhsa_user_sgpr_queue_ptr 0
		.amdhsa_user_sgpr_kernarg_segment_ptr 1
		.amdhsa_user_sgpr_dispatch_id 0
		.amdhsa_user_sgpr_flat_scratch_init 0
		.amdhsa_user_sgpr_kernarg_preload_length 0
		.amdhsa_user_sgpr_kernarg_preload_offset 0
		.amdhsa_user_sgpr_private_segment_size 0
		.amdhsa_uses_dynamic_stack 0
		.amdhsa_system_sgpr_private_segment_wavefront_offset 0
		.amdhsa_system_sgpr_workgroup_id_x 1
		.amdhsa_system_sgpr_workgroup_id_y 0
		.amdhsa_system_sgpr_workgroup_id_z 0
		.amdhsa_system_sgpr_workgroup_info 0
		.amdhsa_system_vgpr_workitem_id 0
		.amdhsa_next_free_vgpr 38
		.amdhsa_next_free_sgpr 7
		.amdhsa_accum_offset 40
		.amdhsa_reserve_vcc 1
		.amdhsa_reserve_flat_scratch 0
		.amdhsa_float_round_mode_32 0
		.amdhsa_float_round_mode_16_64 0
		.amdhsa_float_denorm_mode_32 3
		.amdhsa_float_denorm_mode_16_64 3
		.amdhsa_dx10_clamp 1
		.amdhsa_ieee_mode 1
		.amdhsa_fp16_overflow 0
		.amdhsa_tg_split 0
		.amdhsa_exception_fp_ieee_invalid_op 0
		.amdhsa_exception_fp_denorm_src 0
		.amdhsa_exception_fp_ieee_div_zero 0
		.amdhsa_exception_fp_ieee_overflow 0
		.amdhsa_exception_fp_ieee_underflow 0
		.amdhsa_exception_fp_ieee_inexact 0
		.amdhsa_exception_int_div_zero 0
	.end_amdhsa_kernel
	.section	.text._Z6kernelI2upfLj256ELj32ELj100EEvPKT0_PS1_,"axG",@progbits,_Z6kernelI2upfLj256ELj32ELj100EEvPKT0_PS1_,comdat
.Lfunc_end25:
	.size	_Z6kernelI2upfLj256ELj32ELj100EEvPKT0_PS1_, .Lfunc_end25-_Z6kernelI2upfLj256ELj32ELj100EEvPKT0_PS1_
                                        ; -- End function
	.section	.AMDGPU.csdata,"",@progbits
; Kernel info:
; codeLenInByte = 548
; NumSgprs: 11
; NumVgprs: 38
; NumAgprs: 0
; TotalNumVgprs: 38
; ScratchSize: 0
; MemoryBound: 0
; FloatMode: 240
; IeeeMode: 1
; LDSByteSize: 1024 bytes/workgroup (compile time only)
; SGPRBlocks: 1
; VGPRBlocks: 4
; NumSGPRsForWavesPerEU: 11
; NumVGPRsForWavesPerEU: 38
; AccumOffset: 40
; Occupancy: 8
; WaveLimiterHint : 0
; COMPUTE_PGM_RSRC2:SCRATCH_EN: 0
; COMPUTE_PGM_RSRC2:USER_SGPR: 6
; COMPUTE_PGM_RSRC2:TRAP_HANDLER: 0
; COMPUTE_PGM_RSRC2:TGID_X_EN: 1
; COMPUTE_PGM_RSRC2:TGID_Y_EN: 0
; COMPUTE_PGM_RSRC2:TGID_Z_EN: 0
; COMPUTE_PGM_RSRC2:TIDIG_COMP_CNT: 0
; COMPUTE_PGM_RSRC3_GFX90A:ACCUM_OFFSET: 9
; COMPUTE_PGM_RSRC3_GFX90A:TG_SPLIT: 0
	.section	.text._Z6kernelI2updLj256ELj1ELj100EEvPKT0_PS1_,"axG",@progbits,_Z6kernelI2updLj256ELj1ELj100EEvPKT0_PS1_,comdat
	.protected	_Z6kernelI2updLj256ELj1ELj100EEvPKT0_PS1_ ; -- Begin function _Z6kernelI2updLj256ELj1ELj100EEvPKT0_PS1_
	.globl	_Z6kernelI2updLj256ELj1ELj100EEvPKT0_PS1_
	.p2align	8
	.type	_Z6kernelI2updLj256ELj1ELj100EEvPKT0_PS1_,@function
_Z6kernelI2updLj256ELj1ELj100EEvPKT0_PS1_: ; @_Z6kernelI2updLj256ELj1ELj100EEvPKT0_PS1_
; %bb.0:
	s_load_dwordx4 s[0:3], s[4:5], 0x0
	v_lshl_or_b32 v2, s6, 8, v0
	v_mov_b32_e32 v3, 0
	v_lshlrev_b64 v[2:3], 3, v[2:3]
	s_movk_i32 s4, 0x64
	s_waitcnt lgkmcnt(0)
	v_mov_b32_e32 v1, s1
	v_add_co_u32_e32 v4, vcc, s0, v2
	v_addc_co_u32_e32 v5, vcc, v1, v3, vcc
	global_load_dwordx2 v[4:5], v[4:5], off
	v_lshlrev_b32_e32 v1, 3, v0
	v_cmp_ne_u32_e32 vcc, 0, v0
	v_add_u32_e32 v0, -8, v1
	s_branch .LBB26_2
.LBB26_1:                               ;   in Loop: Header=BB26_2 Depth=1
	s_or_b64 exec, exec, s[0:1]
	s_add_i32 s4, s4, -1
	s_cmp_lg_u32 s4, 0
	s_waitcnt lgkmcnt(0)
	s_barrier
	s_cbranch_scc0 .LBB26_4
.LBB26_2:                               ; =>This Inner Loop Header: Depth=1
	s_waitcnt vmcnt(0)
	ds_write_b64 v1, v[4:5]
	s_waitcnt lgkmcnt(0)
	s_barrier
	s_and_saveexec_b64 s[0:1], vcc
	s_cbranch_execz .LBB26_1
; %bb.3:                                ;   in Loop: Header=BB26_2 Depth=1
	ds_read_b64 v[4:5], v0
	s_branch .LBB26_1
.LBB26_4:
	v_mov_b32_e32 v1, s3
	v_add_co_u32_e32 v0, vcc, s2, v2
	v_addc_co_u32_e32 v1, vcc, v1, v3, vcc
	global_store_dwordx2 v[0:1], v[4:5], off
	s_endpgm
	.section	.rodata,"a",@progbits
	.p2align	6, 0x0
	.amdhsa_kernel _Z6kernelI2updLj256ELj1ELj100EEvPKT0_PS1_
		.amdhsa_group_segment_fixed_size 2048
		.amdhsa_private_segment_fixed_size 0
		.amdhsa_kernarg_size 16
		.amdhsa_user_sgpr_count 6
		.amdhsa_user_sgpr_private_segment_buffer 1
		.amdhsa_user_sgpr_dispatch_ptr 0
		.amdhsa_user_sgpr_queue_ptr 0
		.amdhsa_user_sgpr_kernarg_segment_ptr 1
		.amdhsa_user_sgpr_dispatch_id 0
		.amdhsa_user_sgpr_flat_scratch_init 0
		.amdhsa_user_sgpr_kernarg_preload_length 0
		.amdhsa_user_sgpr_kernarg_preload_offset 0
		.amdhsa_user_sgpr_private_segment_size 0
		.amdhsa_uses_dynamic_stack 0
		.amdhsa_system_sgpr_private_segment_wavefront_offset 0
		.amdhsa_system_sgpr_workgroup_id_x 1
		.amdhsa_system_sgpr_workgroup_id_y 0
		.amdhsa_system_sgpr_workgroup_id_z 0
		.amdhsa_system_sgpr_workgroup_info 0
		.amdhsa_system_vgpr_workitem_id 0
		.amdhsa_next_free_vgpr 6
		.amdhsa_next_free_sgpr 7
		.amdhsa_accum_offset 8
		.amdhsa_reserve_vcc 1
		.amdhsa_reserve_flat_scratch 0
		.amdhsa_float_round_mode_32 0
		.amdhsa_float_round_mode_16_64 0
		.amdhsa_float_denorm_mode_32 3
		.amdhsa_float_denorm_mode_16_64 3
		.amdhsa_dx10_clamp 1
		.amdhsa_ieee_mode 1
		.amdhsa_fp16_overflow 0
		.amdhsa_tg_split 0
		.amdhsa_exception_fp_ieee_invalid_op 0
		.amdhsa_exception_fp_denorm_src 0
		.amdhsa_exception_fp_ieee_div_zero 0
		.amdhsa_exception_fp_ieee_overflow 0
		.amdhsa_exception_fp_ieee_underflow 0
		.amdhsa_exception_fp_ieee_inexact 0
		.amdhsa_exception_int_div_zero 0
	.end_amdhsa_kernel
	.section	.text._Z6kernelI2updLj256ELj1ELj100EEvPKT0_PS1_,"axG",@progbits,_Z6kernelI2updLj256ELj1ELj100EEvPKT0_PS1_,comdat
.Lfunc_end26:
	.size	_Z6kernelI2updLj256ELj1ELj100EEvPKT0_PS1_, .Lfunc_end26-_Z6kernelI2updLj256ELj1ELj100EEvPKT0_PS1_
                                        ; -- End function
	.section	.AMDGPU.csdata,"",@progbits
; Kernel info:
; codeLenInByte = 160
; NumSgprs: 11
; NumVgprs: 6
; NumAgprs: 0
; TotalNumVgprs: 6
; ScratchSize: 0
; MemoryBound: 0
; FloatMode: 240
; IeeeMode: 1
; LDSByteSize: 2048 bytes/workgroup (compile time only)
; SGPRBlocks: 1
; VGPRBlocks: 0
; NumSGPRsForWavesPerEU: 11
; NumVGPRsForWavesPerEU: 6
; AccumOffset: 8
; Occupancy: 8
; WaveLimiterHint : 0
; COMPUTE_PGM_RSRC2:SCRATCH_EN: 0
; COMPUTE_PGM_RSRC2:USER_SGPR: 6
; COMPUTE_PGM_RSRC2:TRAP_HANDLER: 0
; COMPUTE_PGM_RSRC2:TGID_X_EN: 1
; COMPUTE_PGM_RSRC2:TGID_Y_EN: 0
; COMPUTE_PGM_RSRC2:TGID_Z_EN: 0
; COMPUTE_PGM_RSRC2:TIDIG_COMP_CNT: 0
; COMPUTE_PGM_RSRC3_GFX90A:ACCUM_OFFSET: 1
; COMPUTE_PGM_RSRC3_GFX90A:TG_SPLIT: 0
	.section	.text._Z6kernelI2updLj256ELj3ELj100EEvPKT0_PS1_,"axG",@progbits,_Z6kernelI2updLj256ELj3ELj100EEvPKT0_PS1_,comdat
	.protected	_Z6kernelI2updLj256ELj3ELj100EEvPKT0_PS1_ ; -- Begin function _Z6kernelI2updLj256ELj3ELj100EEvPKT0_PS1_
	.globl	_Z6kernelI2updLj256ELj3ELj100EEvPKT0_PS1_
	.p2align	8
	.type	_Z6kernelI2updLj256ELj3ELj100EEvPKT0_PS1_,@function
_Z6kernelI2updLj256ELj3ELj100EEvPKT0_PS1_: ; @_Z6kernelI2updLj256ELj3ELj100EEvPKT0_PS1_
; %bb.0:
	s_load_dwordx4 s[0:3], s[4:5], 0x0
	v_lshl_or_b32 v1, s6, 8, v0
	v_lshl_add_u32 v6, v1, 1, v1
	v_mov_b32_e32 v7, 0
	v_lshlrev_b64 v[2:3], 3, v[6:7]
	s_waitcnt lgkmcnt(0)
	v_mov_b32_e32 v1, s1
	v_add_co_u32_e32 v14, vcc, s0, v2
	v_add_u32_e32 v4, 1, v6
	v_mov_b32_e32 v5, v7
	v_addc_co_u32_e32 v15, vcc, v1, v3, vcc
	v_lshlrev_b64 v[4:5], 3, v[4:5]
	v_add_co_u32_e32 v16, vcc, s0, v4
	v_add_u32_e32 v6, 2, v6
	v_addc_co_u32_e32 v17, vcc, v1, v5, vcc
	v_lshlrev_b64 v[6:7], 3, v[6:7]
	v_add_co_u32_e32 v18, vcc, s0, v6
	v_addc_co_u32_e32 v19, vcc, v1, v7, vcc
	global_load_dwordx2 v[10:11], v[14:15], off
	global_load_dwordx2 v[8:9], v[16:17], off
	global_load_dwordx2 v[12:13], v[18:19], off
	v_lshlrev_b32_e32 v14, 3, v0
	v_cmp_ne_u32_e32 vcc, 0, v0
	v_add_u32_e32 v15, -8, v14
	s_movk_i32 s4, 0x64
.LBB27_1:                               ; =>This Inner Loop Header: Depth=1
	s_waitcnt vmcnt(1)
	v_pk_mov_b32 v[0:1], v[8:9], v[8:9] op_sel:[0,1]
	v_pk_mov_b32 v[8:9], v[10:11], v[10:11] op_sel:[0,1]
	s_waitcnt vmcnt(0)
	ds_write_b64 v14, v[12:13]
	s_waitcnt lgkmcnt(0)
	s_barrier
	s_and_saveexec_b64 s[0:1], vcc
	s_cbranch_execz .LBB27_3
; %bb.2:                                ;   in Loop: Header=BB27_1 Depth=1
	ds_read_b64 v[10:11], v15
.LBB27_3:                               ;   in Loop: Header=BB27_1 Depth=1
	s_or_b64 exec, exec, s[0:1]
	s_add_i32 s4, s4, -1
	s_cmp_lg_u32 s4, 0
	s_waitcnt lgkmcnt(0)
	s_barrier
	s_cbranch_scc0 .LBB27_5
; %bb.4:                                ;   in Loop: Header=BB27_1 Depth=1
	v_pk_mov_b32 v[12:13], v[0:1], v[0:1] op_sel:[0,1]
	s_branch .LBB27_1
.LBB27_5:
	v_mov_b32_e32 v12, s3
	v_add_co_u32_e32 v2, vcc, s2, v2
	v_addc_co_u32_e32 v3, vcc, v12, v3, vcc
	global_store_dwordx2 v[2:3], v[10:11], off
	v_mov_b32_e32 v3, s3
	v_add_co_u32_e32 v2, vcc, s2, v4
	v_addc_co_u32_e32 v3, vcc, v3, v5, vcc
	global_store_dwordx2 v[2:3], v[8:9], off
	;; [unrolled: 4-line block ×3, first 2 shown]
	s_endpgm
	.section	.rodata,"a",@progbits
	.p2align	6, 0x0
	.amdhsa_kernel _Z6kernelI2updLj256ELj3ELj100EEvPKT0_PS1_
		.amdhsa_group_segment_fixed_size 2048
		.amdhsa_private_segment_fixed_size 0
		.amdhsa_kernarg_size 16
		.amdhsa_user_sgpr_count 6
		.amdhsa_user_sgpr_private_segment_buffer 1
		.amdhsa_user_sgpr_dispatch_ptr 0
		.amdhsa_user_sgpr_queue_ptr 0
		.amdhsa_user_sgpr_kernarg_segment_ptr 1
		.amdhsa_user_sgpr_dispatch_id 0
		.amdhsa_user_sgpr_flat_scratch_init 0
		.amdhsa_user_sgpr_kernarg_preload_length 0
		.amdhsa_user_sgpr_kernarg_preload_offset 0
		.amdhsa_user_sgpr_private_segment_size 0
		.amdhsa_uses_dynamic_stack 0
		.amdhsa_system_sgpr_private_segment_wavefront_offset 0
		.amdhsa_system_sgpr_workgroup_id_x 1
		.amdhsa_system_sgpr_workgroup_id_y 0
		.amdhsa_system_sgpr_workgroup_id_z 0
		.amdhsa_system_sgpr_workgroup_info 0
		.amdhsa_system_vgpr_workitem_id 0
		.amdhsa_next_free_vgpr 20
		.amdhsa_next_free_sgpr 7
		.amdhsa_accum_offset 20
		.amdhsa_reserve_vcc 1
		.amdhsa_reserve_flat_scratch 0
		.amdhsa_float_round_mode_32 0
		.amdhsa_float_round_mode_16_64 0
		.amdhsa_float_denorm_mode_32 3
		.amdhsa_float_denorm_mode_16_64 3
		.amdhsa_dx10_clamp 1
		.amdhsa_ieee_mode 1
		.amdhsa_fp16_overflow 0
		.amdhsa_tg_split 0
		.amdhsa_exception_fp_ieee_invalid_op 0
		.amdhsa_exception_fp_denorm_src 0
		.amdhsa_exception_fp_ieee_div_zero 0
		.amdhsa_exception_fp_ieee_overflow 0
		.amdhsa_exception_fp_ieee_underflow 0
		.amdhsa_exception_fp_ieee_inexact 0
		.amdhsa_exception_int_div_zero 0
	.end_amdhsa_kernel
	.section	.text._Z6kernelI2updLj256ELj3ELj100EEvPKT0_PS1_,"axG",@progbits,_Z6kernelI2updLj256ELj3ELj100EEvPKT0_PS1_,comdat
.Lfunc_end27:
	.size	_Z6kernelI2updLj256ELj3ELj100EEvPKT0_PS1_, .Lfunc_end27-_Z6kernelI2updLj256ELj3ELj100EEvPKT0_PS1_
                                        ; -- End function
	.section	.AMDGPU.csdata,"",@progbits
; Kernel info:
; codeLenInByte = 292
; NumSgprs: 11
; NumVgprs: 20
; NumAgprs: 0
; TotalNumVgprs: 20
; ScratchSize: 0
; MemoryBound: 0
; FloatMode: 240
; IeeeMode: 1
; LDSByteSize: 2048 bytes/workgroup (compile time only)
; SGPRBlocks: 1
; VGPRBlocks: 2
; NumSGPRsForWavesPerEU: 11
; NumVGPRsForWavesPerEU: 20
; AccumOffset: 20
; Occupancy: 8
; WaveLimiterHint : 0
; COMPUTE_PGM_RSRC2:SCRATCH_EN: 0
; COMPUTE_PGM_RSRC2:USER_SGPR: 6
; COMPUTE_PGM_RSRC2:TRAP_HANDLER: 0
; COMPUTE_PGM_RSRC2:TGID_X_EN: 1
; COMPUTE_PGM_RSRC2:TGID_Y_EN: 0
; COMPUTE_PGM_RSRC2:TGID_Z_EN: 0
; COMPUTE_PGM_RSRC2:TIDIG_COMP_CNT: 0
; COMPUTE_PGM_RSRC3_GFX90A:ACCUM_OFFSET: 4
; COMPUTE_PGM_RSRC3_GFX90A:TG_SPLIT: 0
	.section	.text._Z6kernelI2updLj256ELj4ELj100EEvPKT0_PS1_,"axG",@progbits,_Z6kernelI2updLj256ELj4ELj100EEvPKT0_PS1_,comdat
	.protected	_Z6kernelI2updLj256ELj4ELj100EEvPKT0_PS1_ ; -- Begin function _Z6kernelI2updLj256ELj4ELj100EEvPKT0_PS1_
	.globl	_Z6kernelI2updLj256ELj4ELj100EEvPKT0_PS1_
	.p2align	8
	.type	_Z6kernelI2updLj256ELj4ELj100EEvPKT0_PS1_,@function
_Z6kernelI2updLj256ELj4ELj100EEvPKT0_PS1_: ; @_Z6kernelI2updLj256ELj4ELj100EEvPKT0_PS1_
; %bb.0:
	s_load_dwordx4 s[0:3], s[4:5], 0x0
	v_lshlrev_b32_e32 v1, 2, v0
	v_lshl_or_b32 v2, s6, 10, v1
	v_mov_b32_e32 v3, 0
	v_lshlrev_b64 v[10:11], 3, v[2:3]
	s_waitcnt lgkmcnt(0)
	v_mov_b32_e32 v1, s1
	v_add_co_u32_e32 v12, vcc, s0, v10
	v_addc_co_u32_e32 v13, vcc, v1, v11, vcc
	global_load_dwordx4 v[2:5], v[12:13], off offset:16
	global_load_dwordx4 v[6:9], v[12:13], off
	v_lshlrev_b32_e32 v12, 3, v0
	v_cmp_ne_u32_e32 vcc, 0, v0
	v_add_u32_e32 v13, -8, v12
	s_movk_i32 s4, 0x64
.LBB28_1:                               ; =>This Inner Loop Header: Depth=1
	s_waitcnt vmcnt(1)
	v_pk_mov_b32 v[0:1], v[2:3], v[2:3] op_sel:[0,1]
	s_waitcnt vmcnt(0)
	v_pk_mov_b32 v[2:3], v[8:9], v[8:9] op_sel:[0,1]
	v_pk_mov_b32 v[8:9], v[6:7], v[6:7] op_sel:[0,1]
	ds_write_b64 v12, v[4:5]
	s_waitcnt lgkmcnt(0)
	s_barrier
	s_and_saveexec_b64 s[0:1], vcc
	s_cbranch_execz .LBB28_3
; %bb.2:                                ;   in Loop: Header=BB28_1 Depth=1
	ds_read_b64 v[6:7], v13
.LBB28_3:                               ;   in Loop: Header=BB28_1 Depth=1
	s_or_b64 exec, exec, s[0:1]
	s_add_i32 s4, s4, -1
	s_cmp_lg_u32 s4, 0
	s_waitcnt lgkmcnt(0)
	s_barrier
	s_cbranch_scc0 .LBB28_5
; %bb.4:                                ;   in Loop: Header=BB28_1 Depth=1
	v_pk_mov_b32 v[4:5], v[0:1], v[0:1] op_sel:[0,1]
	s_branch .LBB28_1
.LBB28_5:
	v_mov_b32_e32 v4, s3
	v_add_co_u32_e32 v10, vcc, s2, v10
	v_addc_co_u32_e32 v11, vcc, v4, v11, vcc
	v_mov_b32_e32 v4, v0
	v_mov_b32_e32 v5, v1
	global_store_dwordx4 v[10:11], v[6:9], off
	global_store_dwordx4 v[10:11], v[2:5], off offset:16
	s_endpgm
	.section	.rodata,"a",@progbits
	.p2align	6, 0x0
	.amdhsa_kernel _Z6kernelI2updLj256ELj4ELj100EEvPKT0_PS1_
		.amdhsa_group_segment_fixed_size 2048
		.amdhsa_private_segment_fixed_size 0
		.amdhsa_kernarg_size 16
		.amdhsa_user_sgpr_count 6
		.amdhsa_user_sgpr_private_segment_buffer 1
		.amdhsa_user_sgpr_dispatch_ptr 0
		.amdhsa_user_sgpr_queue_ptr 0
		.amdhsa_user_sgpr_kernarg_segment_ptr 1
		.amdhsa_user_sgpr_dispatch_id 0
		.amdhsa_user_sgpr_flat_scratch_init 0
		.amdhsa_user_sgpr_kernarg_preload_length 0
		.amdhsa_user_sgpr_kernarg_preload_offset 0
		.amdhsa_user_sgpr_private_segment_size 0
		.amdhsa_uses_dynamic_stack 0
		.amdhsa_system_sgpr_private_segment_wavefront_offset 0
		.amdhsa_system_sgpr_workgroup_id_x 1
		.amdhsa_system_sgpr_workgroup_id_y 0
		.amdhsa_system_sgpr_workgroup_id_z 0
		.amdhsa_system_sgpr_workgroup_info 0
		.amdhsa_system_vgpr_workitem_id 0
		.amdhsa_next_free_vgpr 14
		.amdhsa_next_free_sgpr 7
		.amdhsa_accum_offset 16
		.amdhsa_reserve_vcc 1
		.amdhsa_reserve_flat_scratch 0
		.amdhsa_float_round_mode_32 0
		.amdhsa_float_round_mode_16_64 0
		.amdhsa_float_denorm_mode_32 3
		.amdhsa_float_denorm_mode_16_64 3
		.amdhsa_dx10_clamp 1
		.amdhsa_ieee_mode 1
		.amdhsa_fp16_overflow 0
		.amdhsa_tg_split 0
		.amdhsa_exception_fp_ieee_invalid_op 0
		.amdhsa_exception_fp_denorm_src 0
		.amdhsa_exception_fp_ieee_div_zero 0
		.amdhsa_exception_fp_ieee_overflow 0
		.amdhsa_exception_fp_ieee_underflow 0
		.amdhsa_exception_fp_ieee_inexact 0
		.amdhsa_exception_int_div_zero 0
	.end_amdhsa_kernel
	.section	.text._Z6kernelI2updLj256ELj4ELj100EEvPKT0_PS1_,"axG",@progbits,_Z6kernelI2updLj256ELj4ELj100EEvPKT0_PS1_,comdat
.Lfunc_end28:
	.size	_Z6kernelI2updLj256ELj4ELj100EEvPKT0_PS1_, .Lfunc_end28-_Z6kernelI2updLj256ELj4ELj100EEvPKT0_PS1_
                                        ; -- End function
	.section	.AMDGPU.csdata,"",@progbits
; Kernel info:
; codeLenInByte = 220
; NumSgprs: 11
; NumVgprs: 14
; NumAgprs: 0
; TotalNumVgprs: 14
; ScratchSize: 0
; MemoryBound: 0
; FloatMode: 240
; IeeeMode: 1
; LDSByteSize: 2048 bytes/workgroup (compile time only)
; SGPRBlocks: 1
; VGPRBlocks: 1
; NumSGPRsForWavesPerEU: 11
; NumVGPRsForWavesPerEU: 14
; AccumOffset: 16
; Occupancy: 8
; WaveLimiterHint : 0
; COMPUTE_PGM_RSRC2:SCRATCH_EN: 0
; COMPUTE_PGM_RSRC2:USER_SGPR: 6
; COMPUTE_PGM_RSRC2:TRAP_HANDLER: 0
; COMPUTE_PGM_RSRC2:TGID_X_EN: 1
; COMPUTE_PGM_RSRC2:TGID_Y_EN: 0
; COMPUTE_PGM_RSRC2:TGID_Z_EN: 0
; COMPUTE_PGM_RSRC2:TIDIG_COMP_CNT: 0
; COMPUTE_PGM_RSRC3_GFX90A:ACCUM_OFFSET: 3
; COMPUTE_PGM_RSRC3_GFX90A:TG_SPLIT: 0
	.section	.text._Z6kernelI2updLj256ELj8ELj100EEvPKT0_PS1_,"axG",@progbits,_Z6kernelI2updLj256ELj8ELj100EEvPKT0_PS1_,comdat
	.protected	_Z6kernelI2updLj256ELj8ELj100EEvPKT0_PS1_ ; -- Begin function _Z6kernelI2updLj256ELj8ELj100EEvPKT0_PS1_
	.globl	_Z6kernelI2updLj256ELj8ELj100EEvPKT0_PS1_
	.p2align	8
	.type	_Z6kernelI2updLj256ELj8ELj100EEvPKT0_PS1_,@function
_Z6kernelI2updLj256ELj8ELj100EEvPKT0_PS1_: ; @_Z6kernelI2updLj256ELj8ELj100EEvPKT0_PS1_
; %bb.0:
	s_load_dwordx4 s[0:3], s[4:5], 0x0
	v_lshlrev_b32_e32 v1, 3, v0
	v_lshl_or_b32 v2, s6, 11, v1
	v_mov_b32_e32 v3, 0
	v_lshlrev_b64 v[20:21], 3, v[2:3]
	s_waitcnt lgkmcnt(0)
	v_mov_b32_e32 v2, s1
	v_add_co_u32_e32 v18, vcc, s0, v20
	v_addc_co_u32_e32 v19, vcc, v2, v21, vcc
	global_load_dwordx4 v[2:5], v[18:19], off offset:48
	global_load_dwordx4 v[6:9], v[18:19], off offset:32
	;; [unrolled: 1-line block ×3, first 2 shown]
	global_load_dwordx4 v[14:17], v[18:19], off
	v_cmp_ne_u32_e32 vcc, 0, v0
	v_add_u32_e32 v0, -8, v1
	s_movk_i32 s4, 0x64
.LBB29_1:                               ; =>This Inner Loop Header: Depth=1
	s_waitcnt vmcnt(0)
	v_pk_mov_b32 v[18:19], v[14:15], v[14:15] op_sel:[0,1]
	ds_write_b64 v1, v[4:5]
	s_waitcnt lgkmcnt(0)
	s_barrier
	s_and_saveexec_b64 s[0:1], vcc
	s_cbranch_execz .LBB29_3
; %bb.2:                                ;   in Loop: Header=BB29_1 Depth=1
	ds_read_b64 v[18:19], v0
.LBB29_3:                               ;   in Loop: Header=BB29_1 Depth=1
	s_or_b64 exec, exec, s[0:1]
	s_add_i32 s4, s4, -1
	s_cmp_lg_u32 s4, 0
	s_waitcnt lgkmcnt(0)
	s_barrier
	s_cbranch_scc0 .LBB29_5
; %bb.4:                                ;   in Loop: Header=BB29_1 Depth=1
	v_pk_mov_b32 v[4:5], v[2:3], v[2:3] op_sel:[0,1]
	v_pk_mov_b32 v[2:3], v[8:9], v[8:9] op_sel:[0,1]
	;; [unrolled: 1-line block ×8, first 2 shown]
	s_branch .LBB29_1
.LBB29_5:
	v_mov_b32_e32 v0, s3
	v_add_co_u32_e32 v22, vcc, s2, v20
	v_addc_co_u32_e32 v23, vcc, v0, v21, vcc
	v_mov_b32_e32 v20, v14
	v_mov_b32_e32 v21, v15
	;; [unrolled: 1-line block ×10, first 2 shown]
	global_store_dwordx4 v[22:23], v[18:21], off
	global_store_dwordx4 v[22:23], v[14:17], off offset:16
	global_store_dwordx4 v[22:23], v[4:7], off offset:32
	;; [unrolled: 1-line block ×3, first 2 shown]
	s_endpgm
	.section	.rodata,"a",@progbits
	.p2align	6, 0x0
	.amdhsa_kernel _Z6kernelI2updLj256ELj8ELj100EEvPKT0_PS1_
		.amdhsa_group_segment_fixed_size 2048
		.amdhsa_private_segment_fixed_size 0
		.amdhsa_kernarg_size 16
		.amdhsa_user_sgpr_count 6
		.amdhsa_user_sgpr_private_segment_buffer 1
		.amdhsa_user_sgpr_dispatch_ptr 0
		.amdhsa_user_sgpr_queue_ptr 0
		.amdhsa_user_sgpr_kernarg_segment_ptr 1
		.amdhsa_user_sgpr_dispatch_id 0
		.amdhsa_user_sgpr_flat_scratch_init 0
		.amdhsa_user_sgpr_kernarg_preload_length 0
		.amdhsa_user_sgpr_kernarg_preload_offset 0
		.amdhsa_user_sgpr_private_segment_size 0
		.amdhsa_uses_dynamic_stack 0
		.amdhsa_system_sgpr_private_segment_wavefront_offset 0
		.amdhsa_system_sgpr_workgroup_id_x 1
		.amdhsa_system_sgpr_workgroup_id_y 0
		.amdhsa_system_sgpr_workgroup_id_z 0
		.amdhsa_system_sgpr_workgroup_info 0
		.amdhsa_system_vgpr_workitem_id 0
		.amdhsa_next_free_vgpr 24
		.amdhsa_next_free_sgpr 7
		.amdhsa_accum_offset 24
		.amdhsa_reserve_vcc 1
		.amdhsa_reserve_flat_scratch 0
		.amdhsa_float_round_mode_32 0
		.amdhsa_float_round_mode_16_64 0
		.amdhsa_float_denorm_mode_32 3
		.amdhsa_float_denorm_mode_16_64 3
		.amdhsa_dx10_clamp 1
		.amdhsa_ieee_mode 1
		.amdhsa_fp16_overflow 0
		.amdhsa_tg_split 0
		.amdhsa_exception_fp_ieee_invalid_op 0
		.amdhsa_exception_fp_denorm_src 0
		.amdhsa_exception_fp_ieee_div_zero 0
		.amdhsa_exception_fp_ieee_overflow 0
		.amdhsa_exception_fp_ieee_underflow 0
		.amdhsa_exception_fp_ieee_inexact 0
		.amdhsa_exception_int_div_zero 0
	.end_amdhsa_kernel
	.section	.text._Z6kernelI2updLj256ELj8ELj100EEvPKT0_PS1_,"axG",@progbits,_Z6kernelI2updLj256ELj8ELj100EEvPKT0_PS1_,comdat
.Lfunc_end29:
	.size	_Z6kernelI2updLj256ELj8ELj100EEvPKT0_PS1_, .Lfunc_end29-_Z6kernelI2updLj256ELj8ELj100EEvPKT0_PS1_
                                        ; -- End function
	.section	.AMDGPU.csdata,"",@progbits
; Kernel info:
; codeLenInByte = 316
; NumSgprs: 11
; NumVgprs: 24
; NumAgprs: 0
; TotalNumVgprs: 24
; ScratchSize: 0
; MemoryBound: 1
; FloatMode: 240
; IeeeMode: 1
; LDSByteSize: 2048 bytes/workgroup (compile time only)
; SGPRBlocks: 1
; VGPRBlocks: 2
; NumSGPRsForWavesPerEU: 11
; NumVGPRsForWavesPerEU: 24
; AccumOffset: 24
; Occupancy: 8
; WaveLimiterHint : 0
; COMPUTE_PGM_RSRC2:SCRATCH_EN: 0
; COMPUTE_PGM_RSRC2:USER_SGPR: 6
; COMPUTE_PGM_RSRC2:TRAP_HANDLER: 0
; COMPUTE_PGM_RSRC2:TGID_X_EN: 1
; COMPUTE_PGM_RSRC2:TGID_Y_EN: 0
; COMPUTE_PGM_RSRC2:TGID_Z_EN: 0
; COMPUTE_PGM_RSRC2:TIDIG_COMP_CNT: 0
; COMPUTE_PGM_RSRC3_GFX90A:ACCUM_OFFSET: 5
; COMPUTE_PGM_RSRC3_GFX90A:TG_SPLIT: 0
	.section	.text._Z6kernelI2updLj256ELj16ELj100EEvPKT0_PS1_,"axG",@progbits,_Z6kernelI2updLj256ELj16ELj100EEvPKT0_PS1_,comdat
	.protected	_Z6kernelI2updLj256ELj16ELj100EEvPKT0_PS1_ ; -- Begin function _Z6kernelI2updLj256ELj16ELj100EEvPKT0_PS1_
	.globl	_Z6kernelI2updLj256ELj16ELj100EEvPKT0_PS1_
	.p2align	8
	.type	_Z6kernelI2updLj256ELj16ELj100EEvPKT0_PS1_,@function
_Z6kernelI2updLj256ELj16ELj100EEvPKT0_PS1_: ; @_Z6kernelI2updLj256ELj16ELj100EEvPKT0_PS1_
; %bb.0:
	s_load_dwordx4 s[0:3], s[4:5], 0x0
	v_lshlrev_b32_e32 v1, 4, v0
	v_lshl_or_b32 v2, s6, 12, v1
	v_mov_b32_e32 v3, 0
	v_lshlrev_b64 v[36:37], 3, v[2:3]
	s_waitcnt lgkmcnt(0)
	v_mov_b32_e32 v1, s1
	v_add_co_u32_e32 v34, vcc, s0, v36
	v_addc_co_u32_e32 v35, vcc, v1, v37, vcc
	global_load_dwordx4 v[2:5], v[34:35], off offset:48
	global_load_dwordx4 v[6:9], v[34:35], off offset:32
	;; [unrolled: 1-line block ×3, first 2 shown]
	global_load_dwordx4 v[26:29], v[34:35], off
	global_load_dwordx4 v[10:13], v[34:35], off offset:112
	global_load_dwordx4 v[14:17], v[34:35], off offset:96
	;; [unrolled: 1-line block ×4, first 2 shown]
	v_lshlrev_b32_e32 v1, 3, v0
	v_cmp_ne_u32_e32 vcc, 0, v0
	v_add_u32_e32 v0, -8, v1
	s_movk_i32 s4, 0x64
.LBB30_1:                               ; =>This Inner Loop Header: Depth=1
	s_waitcnt vmcnt(4)
	v_pk_mov_b32 v[34:35], v[26:27], v[26:27] op_sel:[0,1]
	s_waitcnt vmcnt(3)
	ds_write_b64 v1, v[12:13]
	s_waitcnt lgkmcnt(0)
	s_barrier
	s_and_saveexec_b64 s[0:1], vcc
	s_cbranch_execz .LBB30_3
; %bb.2:                                ;   in Loop: Header=BB30_1 Depth=1
	ds_read_b64 v[34:35], v0
.LBB30_3:                               ;   in Loop: Header=BB30_1 Depth=1
	s_or_b64 exec, exec, s[0:1]
	s_add_i32 s4, s4, -1
	s_cmp_lg_u32 s4, 0
	s_waitcnt lgkmcnt(0)
	s_barrier
	s_cbranch_scc0 .LBB30_5
; %bb.4:                                ;   in Loop: Header=BB30_1 Depth=1
	v_pk_mov_b32 v[12:13], v[10:11], v[10:11] op_sel:[0,1]
	s_waitcnt vmcnt(2)
	v_pk_mov_b32 v[10:11], v[16:17], v[16:17] op_sel:[0,1]
	v_pk_mov_b32 v[16:17], v[14:15], v[14:15] op_sel:[0,1]
	s_waitcnt vmcnt(1)
	v_pk_mov_b32 v[14:15], v[24:25], v[24:25] op_sel:[0,1]
	;; [unrolled: 3-line block ×3, first 2 shown]
	v_pk_mov_b32 v[32:33], v[30:31], v[30:31] op_sel:[0,1]
	v_pk_mov_b32 v[30:31], v[4:5], v[4:5] op_sel:[0,1]
	;; [unrolled: 1-line block ×10, first 2 shown]
	s_branch .LBB30_1
.LBB30_5:
	v_mov_b32_e32 v0, s3
	v_add_co_u32_e32 v12, vcc, s2, v36
	v_addc_co_u32_e32 v13, vcc, v0, v37, vcc
	v_mov_b32_e32 v0, v8
	v_mov_b32_e32 v1, v9
	global_store_dwordx4 v[12:13], v[0:3], off offset:48
	v_mov_b32_e32 v36, v26
	v_mov_b32_e32 v0, v4
	;; [unrolled: 1-line block ×3, first 2 shown]
	s_waitcnt vmcnt(1)
	v_mov_b32_e32 v2, v30
	v_mov_b32_e32 v3, v31
	global_store_dwordx4 v[12:13], v[0:3], off offset:64
	v_mov_b32_e32 v37, v27
	v_mov_b32_e32 v0, v32
	;; [unrolled: 1-line block ×5, first 2 shown]
	global_store_dwordx4 v[12:13], v[0:3], off offset:80
	v_mov_b32_e32 v26, v28
	v_mov_b32_e32 v0, v24
	;; [unrolled: 1-line block ×12, first 2 shown]
	global_store_dwordx4 v[12:13], v[0:3], off offset:96
	global_store_dwordx4 v[12:13], v[34:37], off
	v_mov_b32_e32 v0, v16
	v_mov_b32_e32 v1, v17
	;; [unrolled: 1-line block ×4, first 2 shown]
	global_store_dwordx4 v[12:13], v[26:29], off offset:16
	global_store_dwordx4 v[12:13], v[18:21], off offset:32
	;; [unrolled: 1-line block ×3, first 2 shown]
	s_endpgm
	.section	.rodata,"a",@progbits
	.p2align	6, 0x0
	.amdhsa_kernel _Z6kernelI2updLj256ELj16ELj100EEvPKT0_PS1_
		.amdhsa_group_segment_fixed_size 2048
		.amdhsa_private_segment_fixed_size 0
		.amdhsa_kernarg_size 16
		.amdhsa_user_sgpr_count 6
		.amdhsa_user_sgpr_private_segment_buffer 1
		.amdhsa_user_sgpr_dispatch_ptr 0
		.amdhsa_user_sgpr_queue_ptr 0
		.amdhsa_user_sgpr_kernarg_segment_ptr 1
		.amdhsa_user_sgpr_dispatch_id 0
		.amdhsa_user_sgpr_flat_scratch_init 0
		.amdhsa_user_sgpr_kernarg_preload_length 0
		.amdhsa_user_sgpr_kernarg_preload_offset 0
		.amdhsa_user_sgpr_private_segment_size 0
		.amdhsa_uses_dynamic_stack 0
		.amdhsa_system_sgpr_private_segment_wavefront_offset 0
		.amdhsa_system_sgpr_workgroup_id_x 1
		.amdhsa_system_sgpr_workgroup_id_y 0
		.amdhsa_system_sgpr_workgroup_id_z 0
		.amdhsa_system_sgpr_workgroup_info 0
		.amdhsa_system_vgpr_workitem_id 0
		.amdhsa_next_free_vgpr 38
		.amdhsa_next_free_sgpr 7
		.amdhsa_accum_offset 40
		.amdhsa_reserve_vcc 1
		.amdhsa_reserve_flat_scratch 0
		.amdhsa_float_round_mode_32 0
		.amdhsa_float_round_mode_16_64 0
		.amdhsa_float_denorm_mode_32 3
		.amdhsa_float_denorm_mode_16_64 3
		.amdhsa_dx10_clamp 1
		.amdhsa_ieee_mode 1
		.amdhsa_fp16_overflow 0
		.amdhsa_tg_split 0
		.amdhsa_exception_fp_ieee_invalid_op 0
		.amdhsa_exception_fp_denorm_src 0
		.amdhsa_exception_fp_ieee_div_zero 0
		.amdhsa_exception_fp_ieee_overflow 0
		.amdhsa_exception_fp_ieee_underflow 0
		.amdhsa_exception_fp_ieee_inexact 0
		.amdhsa_exception_int_div_zero 0
	.end_amdhsa_kernel
	.section	.text._Z6kernelI2updLj256ELj16ELj100EEvPKT0_PS1_,"axG",@progbits,_Z6kernelI2updLj256ELj16ELj100EEvPKT0_PS1_,comdat
.Lfunc_end30:
	.size	_Z6kernelI2updLj256ELj16ELj100EEvPKT0_PS1_, .Lfunc_end30-_Z6kernelI2updLj256ELj16ELj100EEvPKT0_PS1_
                                        ; -- End function
	.section	.AMDGPU.csdata,"",@progbits
; Kernel info:
; codeLenInByte = 540
; NumSgprs: 11
; NumVgprs: 38
; NumAgprs: 0
; TotalNumVgprs: 38
; ScratchSize: 0
; MemoryBound: 1
; FloatMode: 240
; IeeeMode: 1
; LDSByteSize: 2048 bytes/workgroup (compile time only)
; SGPRBlocks: 1
; VGPRBlocks: 4
; NumSGPRsForWavesPerEU: 11
; NumVGPRsForWavesPerEU: 38
; AccumOffset: 40
; Occupancy: 8
; WaveLimiterHint : 0
; COMPUTE_PGM_RSRC2:SCRATCH_EN: 0
; COMPUTE_PGM_RSRC2:USER_SGPR: 6
; COMPUTE_PGM_RSRC2:TRAP_HANDLER: 0
; COMPUTE_PGM_RSRC2:TGID_X_EN: 1
; COMPUTE_PGM_RSRC2:TGID_Y_EN: 0
; COMPUTE_PGM_RSRC2:TGID_Z_EN: 0
; COMPUTE_PGM_RSRC2:TIDIG_COMP_CNT: 0
; COMPUTE_PGM_RSRC3_GFX90A:ACCUM_OFFSET: 9
; COMPUTE_PGM_RSRC3_GFX90A:TG_SPLIT: 0
	.section	.text._Z6kernelI2updLj256ELj32ELj100EEvPKT0_PS1_,"axG",@progbits,_Z6kernelI2updLj256ELj32ELj100EEvPKT0_PS1_,comdat
	.protected	_Z6kernelI2updLj256ELj32ELj100EEvPKT0_PS1_ ; -- Begin function _Z6kernelI2updLj256ELj32ELj100EEvPKT0_PS1_
	.globl	_Z6kernelI2updLj256ELj32ELj100EEvPKT0_PS1_
	.p2align	8
	.type	_Z6kernelI2updLj256ELj32ELj100EEvPKT0_PS1_,@function
_Z6kernelI2updLj256ELj32ELj100EEvPKT0_PS1_: ; @_Z6kernelI2updLj256ELj32ELj100EEvPKT0_PS1_
; %bb.0:
	s_load_dwordx4 s[0:3], s[4:5], 0x0
	v_lshlrev_b32_e32 v1, 5, v0
	v_lshl_or_b32 v2, s6, 13, v1
	v_mov_b32_e32 v3, 0
	v_lshlrev_b64 v[68:69], 3, v[2:3]
	s_waitcnt lgkmcnt(0)
	v_mov_b32_e32 v1, s1
	v_add_co_u32_e32 v62, vcc, s0, v68
	v_addc_co_u32_e32 v63, vcc, v1, v69, vcc
	global_load_dwordx4 v[2:5], v[62:63], off offset:48
	global_load_dwordx4 v[10:13], v[62:63], off offset:32
	;; [unrolled: 1-line block ×3, first 2 shown]
	global_load_dwordx4 v[42:45], v[62:63], off
	global_load_dwordx4 v[6:9], v[62:63], off offset:112
	global_load_dwordx4 v[18:21], v[62:63], off offset:96
	;; [unrolled: 1-line block ×11, first 2 shown]
	s_nop 0
	global_load_dwordx4 v[62:65], v[62:63], off offset:192
	v_lshlrev_b32_e32 v1, 3, v0
	v_cmp_ne_u32_e32 vcc, 0, v0
	v_add_u32_e32 v0, -8, v1
	s_movk_i32 s4, 0x64
.LBB31_1:                               ; =>This Inner Loop Header: Depth=1
	s_waitcnt vmcnt(12)
	v_pk_mov_b32 v[66:67], v[42:43], v[42:43] op_sel:[0,1]
	s_waitcnt vmcnt(3)
	ds_write_b64 v1, v[32:33]
	s_waitcnt lgkmcnt(0)
	s_barrier
	s_and_saveexec_b64 s[0:1], vcc
	s_cbranch_execz .LBB31_3
; %bb.2:                                ;   in Loop: Header=BB31_1 Depth=1
	ds_read_b64 v[66:67], v0
.LBB31_3:                               ;   in Loop: Header=BB31_1 Depth=1
	s_or_b64 exec, exec, s[0:1]
	s_add_i32 s4, s4, -1
	s_cmp_lg_u32 s4, 0
	s_waitcnt lgkmcnt(0)
	s_barrier
	s_cbranch_scc0 .LBB31_5
; %bb.4:                                ;   in Loop: Header=BB31_1 Depth=1
	v_pk_mov_b32 v[32:33], v[30:31], v[30:31] op_sel:[0,1]
	s_waitcnt vmcnt(2)
	v_pk_mov_b32 v[30:31], v[40:41], v[40:41] op_sel:[0,1]
	v_pk_mov_b32 v[40:41], v[38:39], v[38:39] op_sel:[0,1]
	s_waitcnt vmcnt(1)
	v_pk_mov_b32 v[38:39], v[56:57], v[56:57] op_sel:[0,1]
	;; [unrolled: 3-line block ×3, first 2 shown]
	v_pk_mov_b32 v[64:65], v[62:63], v[62:63] op_sel:[0,1]
	v_pk_mov_b32 v[62:63], v[16:17], v[16:17] op_sel:[0,1]
	;; [unrolled: 1-line block ×26, first 2 shown]
	s_branch .LBB31_1
.LBB31_5:
	v_mov_b32_e32 v0, s3
	v_add_co_u32_e32 v32, vcc, s2, v68
	v_addc_co_u32_e32 v33, vcc, v0, v69, vcc
	v_mov_b32_e32 v0, v12
	v_mov_b32_e32 v1, v13
	global_store_dwordx4 v[32:33], v[0:3], off offset:48
	v_mov_b32_e32 v68, v42
	v_mov_b32_e32 v0, v4
	v_mov_b32_e32 v1, v5
	v_mov_b32_e32 v2, v50
	v_mov_b32_e32 v3, v51
	global_store_dwordx4 v[32:33], v[0:3], off offset:64
	v_mov_b32_e32 v69, v43
	v_mov_b32_e32 v0, v52
	v_mov_b32_e32 v1, v53
	;; [unrolled: 6-line block ×9, first 2 shown]
	s_waitcnt vmcnt(9)
	v_mov_b32_e32 v2, v62
	v_mov_b32_e32 v3, v63
	global_store_dwordx4 v[32:33], v[0:3], off offset:192
	v_mov_b32_e32 v25, v11
	v_mov_b32_e32 v0, v64
	;; [unrolled: 1-line block ×5, first 2 shown]
	global_store_dwordx4 v[32:33], v[0:3], off offset:208
	global_store_dwordx4 v[32:33], v[66:69], off
	v_mov_b32_e32 v0, v56
	v_mov_b32_e32 v1, v57
	;; [unrolled: 1-line block ×4, first 2 shown]
	global_store_dwordx4 v[32:33], v[0:3], off offset:224
	global_store_dwordx4 v[32:33], v[42:45], off offset:16
	v_mov_b32_e32 v0, v40
	v_mov_b32_e32 v1, v41
	;; [unrolled: 1-line block ×4, first 2 shown]
	global_store_dwordx4 v[32:33], v[22:25], off offset:32
	global_store_dwordx4 v[32:33], v[0:3], off offset:240
	s_endpgm
	.section	.rodata,"a",@progbits
	.p2align	6, 0x0
	.amdhsa_kernel _Z6kernelI2updLj256ELj32ELj100EEvPKT0_PS1_
		.amdhsa_group_segment_fixed_size 2048
		.amdhsa_private_segment_fixed_size 0
		.amdhsa_kernarg_size 16
		.amdhsa_user_sgpr_count 6
		.amdhsa_user_sgpr_private_segment_buffer 1
		.amdhsa_user_sgpr_dispatch_ptr 0
		.amdhsa_user_sgpr_queue_ptr 0
		.amdhsa_user_sgpr_kernarg_segment_ptr 1
		.amdhsa_user_sgpr_dispatch_id 0
		.amdhsa_user_sgpr_flat_scratch_init 0
		.amdhsa_user_sgpr_kernarg_preload_length 0
		.amdhsa_user_sgpr_kernarg_preload_offset 0
		.amdhsa_user_sgpr_private_segment_size 0
		.amdhsa_uses_dynamic_stack 0
		.amdhsa_system_sgpr_private_segment_wavefront_offset 0
		.amdhsa_system_sgpr_workgroup_id_x 1
		.amdhsa_system_sgpr_workgroup_id_y 0
		.amdhsa_system_sgpr_workgroup_id_z 0
		.amdhsa_system_sgpr_workgroup_info 0
		.amdhsa_system_vgpr_workitem_id 0
		.amdhsa_next_free_vgpr 70
		.amdhsa_next_free_sgpr 7
		.amdhsa_accum_offset 72
		.amdhsa_reserve_vcc 1
		.amdhsa_reserve_flat_scratch 0
		.amdhsa_float_round_mode_32 0
		.amdhsa_float_round_mode_16_64 0
		.amdhsa_float_denorm_mode_32 3
		.amdhsa_float_denorm_mode_16_64 3
		.amdhsa_dx10_clamp 1
		.amdhsa_ieee_mode 1
		.amdhsa_fp16_overflow 0
		.amdhsa_tg_split 0
		.amdhsa_exception_fp_ieee_invalid_op 0
		.amdhsa_exception_fp_denorm_src 0
		.amdhsa_exception_fp_ieee_div_zero 0
		.amdhsa_exception_fp_ieee_overflow 0
		.amdhsa_exception_fp_ieee_underflow 0
		.amdhsa_exception_fp_ieee_inexact 0
		.amdhsa_exception_int_div_zero 0
	.end_amdhsa_kernel
	.section	.text._Z6kernelI2updLj256ELj32ELj100EEvPKT0_PS1_,"axG",@progbits,_Z6kernelI2updLj256ELj32ELj100EEvPKT0_PS1_,comdat
.Lfunc_end31:
	.size	_Z6kernelI2updLj256ELj32ELj100EEvPKT0_PS1_, .Lfunc_end31-_Z6kernelI2updLj256ELj32ELj100EEvPKT0_PS1_
                                        ; -- End function
	.section	.AMDGPU.csdata,"",@progbits
; Kernel info:
; codeLenInByte = 928
; NumSgprs: 11
; NumVgprs: 70
; NumAgprs: 0
; TotalNumVgprs: 70
; ScratchSize: 0
; MemoryBound: 1
; FloatMode: 240
; IeeeMode: 1
; LDSByteSize: 2048 bytes/workgroup (compile time only)
; SGPRBlocks: 1
; VGPRBlocks: 8
; NumSGPRsForWavesPerEU: 11
; NumVGPRsForWavesPerEU: 70
; AccumOffset: 72
; Occupancy: 7
; WaveLimiterHint : 0
; COMPUTE_PGM_RSRC2:SCRATCH_EN: 0
; COMPUTE_PGM_RSRC2:USER_SGPR: 6
; COMPUTE_PGM_RSRC2:TRAP_HANDLER: 0
; COMPUTE_PGM_RSRC2:TGID_X_EN: 1
; COMPUTE_PGM_RSRC2:TGID_Y_EN: 0
; COMPUTE_PGM_RSRC2:TGID_Z_EN: 0
; COMPUTE_PGM_RSRC2:TIDIG_COMP_CNT: 0
; COMPUTE_PGM_RSRC3_GFX90A:ACCUM_OFFSET: 17
; COMPUTE_PGM_RSRC3_GFX90A:TG_SPLIT: 0
	.section	.text._Z6kernelI2upaLj256ELj1ELj100EEvPKT0_PS1_,"axG",@progbits,_Z6kernelI2upaLj256ELj1ELj100EEvPKT0_PS1_,comdat
	.protected	_Z6kernelI2upaLj256ELj1ELj100EEvPKT0_PS1_ ; -- Begin function _Z6kernelI2upaLj256ELj1ELj100EEvPKT0_PS1_
	.globl	_Z6kernelI2upaLj256ELj1ELj100EEvPKT0_PS1_
	.p2align	8
	.type	_Z6kernelI2upaLj256ELj1ELj100EEvPKT0_PS1_,@function
_Z6kernelI2upaLj256ELj1ELj100EEvPKT0_PS1_: ; @_Z6kernelI2upaLj256ELj1ELj100EEvPKT0_PS1_
; %bb.0:
	s_load_dwordx4 s[0:3], s[4:5], 0x0
	v_lshl_or_b32 v2, s6, 8, v0
	v_cmp_ne_u32_e32 vcc, 0, v0
	v_add_u32_e32 v3, -1, v0
	s_movk_i32 s4, 0x64
	s_waitcnt lgkmcnt(0)
	global_load_ubyte v1, v2, s[0:1]
	s_branch .LBB32_2
.LBB32_1:                               ;   in Loop: Header=BB32_2 Depth=1
	s_or_b64 exec, exec, s[0:1]
	s_add_i32 s4, s4, -1
	s_cmp_lg_u32 s4, 0
	s_waitcnt lgkmcnt(0)
	s_barrier
	s_cbranch_scc0 .LBB32_4
.LBB32_2:                               ; =>This Inner Loop Header: Depth=1
	s_waitcnt vmcnt(0)
	ds_write_b8 v0, v1
	s_waitcnt lgkmcnt(0)
	s_barrier
	s_and_saveexec_b64 s[0:1], vcc
	s_cbranch_execz .LBB32_1
; %bb.3:                                ;   in Loop: Header=BB32_2 Depth=1
	ds_read_u8 v1, v3
	s_branch .LBB32_1
.LBB32_4:
	v_mov_b32_e32 v0, s3
	v_add_co_u32_e32 v2, vcc, s2, v2
	v_addc_co_u32_e32 v3, vcc, 0, v0, vcc
	global_store_byte v[2:3], v1, off
	s_endpgm
	.section	.rodata,"a",@progbits
	.p2align	6, 0x0
	.amdhsa_kernel _Z6kernelI2upaLj256ELj1ELj100EEvPKT0_PS1_
		.amdhsa_group_segment_fixed_size 256
		.amdhsa_private_segment_fixed_size 0
		.amdhsa_kernarg_size 16
		.amdhsa_user_sgpr_count 6
		.amdhsa_user_sgpr_private_segment_buffer 1
		.amdhsa_user_sgpr_dispatch_ptr 0
		.amdhsa_user_sgpr_queue_ptr 0
		.amdhsa_user_sgpr_kernarg_segment_ptr 1
		.amdhsa_user_sgpr_dispatch_id 0
		.amdhsa_user_sgpr_flat_scratch_init 0
		.amdhsa_user_sgpr_kernarg_preload_length 0
		.amdhsa_user_sgpr_kernarg_preload_offset 0
		.amdhsa_user_sgpr_private_segment_size 0
		.amdhsa_uses_dynamic_stack 0
		.amdhsa_system_sgpr_private_segment_wavefront_offset 0
		.amdhsa_system_sgpr_workgroup_id_x 1
		.amdhsa_system_sgpr_workgroup_id_y 0
		.amdhsa_system_sgpr_workgroup_id_z 0
		.amdhsa_system_sgpr_workgroup_info 0
		.amdhsa_system_vgpr_workitem_id 0
		.amdhsa_next_free_vgpr 4
		.amdhsa_next_free_sgpr 7
		.amdhsa_accum_offset 4
		.amdhsa_reserve_vcc 1
		.amdhsa_reserve_flat_scratch 0
		.amdhsa_float_round_mode_32 0
		.amdhsa_float_round_mode_16_64 0
		.amdhsa_float_denorm_mode_32 3
		.amdhsa_float_denorm_mode_16_64 3
		.amdhsa_dx10_clamp 1
		.amdhsa_ieee_mode 1
		.amdhsa_fp16_overflow 0
		.amdhsa_tg_split 0
		.amdhsa_exception_fp_ieee_invalid_op 0
		.amdhsa_exception_fp_denorm_src 0
		.amdhsa_exception_fp_ieee_div_zero 0
		.amdhsa_exception_fp_ieee_overflow 0
		.amdhsa_exception_fp_ieee_underflow 0
		.amdhsa_exception_fp_ieee_inexact 0
		.amdhsa_exception_int_div_zero 0
	.end_amdhsa_kernel
	.section	.text._Z6kernelI2upaLj256ELj1ELj100EEvPKT0_PS1_,"axG",@progbits,_Z6kernelI2upaLj256ELj1ELj100EEvPKT0_PS1_,comdat
.Lfunc_end32:
	.size	_Z6kernelI2upaLj256ELj1ELj100EEvPKT0_PS1_, .Lfunc_end32-_Z6kernelI2upaLj256ELj1ELj100EEvPKT0_PS1_
                                        ; -- End function
	.section	.AMDGPU.csdata,"",@progbits
; Kernel info:
; codeLenInByte = 132
; NumSgprs: 11
; NumVgprs: 4
; NumAgprs: 0
; TotalNumVgprs: 4
; ScratchSize: 0
; MemoryBound: 0
; FloatMode: 240
; IeeeMode: 1
; LDSByteSize: 256 bytes/workgroup (compile time only)
; SGPRBlocks: 1
; VGPRBlocks: 0
; NumSGPRsForWavesPerEU: 11
; NumVGPRsForWavesPerEU: 4
; AccumOffset: 4
; Occupancy: 8
; WaveLimiterHint : 0
; COMPUTE_PGM_RSRC2:SCRATCH_EN: 0
; COMPUTE_PGM_RSRC2:USER_SGPR: 6
; COMPUTE_PGM_RSRC2:TRAP_HANDLER: 0
; COMPUTE_PGM_RSRC2:TGID_X_EN: 1
; COMPUTE_PGM_RSRC2:TGID_Y_EN: 0
; COMPUTE_PGM_RSRC2:TGID_Z_EN: 0
; COMPUTE_PGM_RSRC2:TIDIG_COMP_CNT: 0
; COMPUTE_PGM_RSRC3_GFX90A:ACCUM_OFFSET: 0
; COMPUTE_PGM_RSRC3_GFX90A:TG_SPLIT: 0
	.section	.text._Z6kernelI2upaLj256ELj3ELj100EEvPKT0_PS1_,"axG",@progbits,_Z6kernelI2upaLj256ELj3ELj100EEvPKT0_PS1_,comdat
	.protected	_Z6kernelI2upaLj256ELj3ELj100EEvPKT0_PS1_ ; -- Begin function _Z6kernelI2upaLj256ELj3ELj100EEvPKT0_PS1_
	.globl	_Z6kernelI2upaLj256ELj3ELj100EEvPKT0_PS1_
	.p2align	8
	.type	_Z6kernelI2upaLj256ELj3ELj100EEvPKT0_PS1_,@function
_Z6kernelI2upaLj256ELj3ELj100EEvPKT0_PS1_: ; @_Z6kernelI2upaLj256ELj3ELj100EEvPKT0_PS1_
; %bb.0:
	s_load_dwordx4 s[0:3], s[4:5], 0x0
	v_lshl_or_b32 v1, s6, 8, v0
	v_lshl_add_u32 v6, v1, 1, v1
	v_add_u32_e32 v4, 1, v6
	v_add_u32_e32 v2, 2, v6
	s_waitcnt lgkmcnt(0)
	global_load_ubyte v1, v4, s[0:1]
	global_load_ubyte v5, v6, s[0:1]
	;; [unrolled: 1-line block ×3, first 2 shown]
	s_movk_i32 s4, 0x64
	s_mov_b32 s5, 0x3020104
	v_cmp_ne_u32_e32 vcc, 0, v0
	v_add_u32_e32 v3, -1, v0
	s_waitcnt vmcnt(2)
	v_lshlrev_b16_e32 v1, 8, v1
	s_waitcnt vmcnt(1)
	v_or_b32_e32 v1, v5, v1
	v_and_b32_e32 v1, 0xffff, v1
	s_waitcnt vmcnt(0)
	v_lshl_or_b32 v1, v7, 16, v1
	v_mov_b32_e32 v5, 8
	s_branch .LBB33_2
.LBB33_1:                               ;   in Loop: Header=BB33_2 Depth=1
	s_or_b64 exec, exec, s[0:1]
	s_add_i32 s4, s4, -1
	s_cmp_lg_u32 s4, 0
	s_barrier
	s_cbranch_scc0 .LBB33_4
.LBB33_2:                               ; =>This Inner Loop Header: Depth=1
	v_lshlrev_b16_e32 v8, 8, v1
	v_lshrrev_b16_e32 v7, 8, v1
	v_lshrrev_b32_sdwa v8, v5, v8 dst_sel:BYTE_1 dst_unused:UNUSED_PAD src0_sel:DWORD src1_sel:DWORD
	ds_write_b8_d16_hi v0, v1
	v_or_b32_sdwa v1, v1, v8 dst_sel:DWORD dst_unused:UNUSED_PAD src0_sel:BYTE_0 src1_sel:DWORD
	v_lshlrev_b32_e32 v7, 16, v7
	v_or_b32_sdwa v1, v1, v7 dst_sel:DWORD dst_unused:UNUSED_PAD src0_sel:WORD_0 src1_sel:DWORD
	s_waitcnt lgkmcnt(0)
	s_barrier
	s_and_saveexec_b64 s[0:1], vcc
	s_cbranch_execz .LBB33_1
; %bb.3:                                ;   in Loop: Header=BB33_2 Depth=1
	ds_read_u8 v7, v3
	s_waitcnt lgkmcnt(0)
	v_perm_b32 v1, v7, v1, s5
	s_branch .LBB33_1
.LBB33_4:
	v_mov_b32_e32 v0, s3
	v_add_co_u32_e32 v6, vcc, s2, v6
	v_addc_co_u32_e32 v7, vcc, 0, v0, vcc
	v_mov_b32_e32 v3, s3
	v_add_co_u32_e32 v4, vcc, s2, v4
	v_lshrrev_b32_e32 v0, 8, v1
	v_addc_co_u32_e32 v5, vcc, 0, v3, vcc
	global_store_byte v[4:5], v0, off
	v_mov_b32_e32 v0, s3
	v_add_co_u32_e32 v2, vcc, s2, v2
	v_addc_co_u32_e32 v3, vcc, 0, v0, vcc
	global_store_byte v[6:7], v1, off
	global_store_byte_d16_hi v[2:3], v1, off
	s_endpgm
	.section	.rodata,"a",@progbits
	.p2align	6, 0x0
	.amdhsa_kernel _Z6kernelI2upaLj256ELj3ELj100EEvPKT0_PS1_
		.amdhsa_group_segment_fixed_size 256
		.amdhsa_private_segment_fixed_size 0
		.amdhsa_kernarg_size 16
		.amdhsa_user_sgpr_count 6
		.amdhsa_user_sgpr_private_segment_buffer 1
		.amdhsa_user_sgpr_dispatch_ptr 0
		.amdhsa_user_sgpr_queue_ptr 0
		.amdhsa_user_sgpr_kernarg_segment_ptr 1
		.amdhsa_user_sgpr_dispatch_id 0
		.amdhsa_user_sgpr_flat_scratch_init 0
		.amdhsa_user_sgpr_kernarg_preload_length 0
		.amdhsa_user_sgpr_kernarg_preload_offset 0
		.amdhsa_user_sgpr_private_segment_size 0
		.amdhsa_uses_dynamic_stack 0
		.amdhsa_system_sgpr_private_segment_wavefront_offset 0
		.amdhsa_system_sgpr_workgroup_id_x 1
		.amdhsa_system_sgpr_workgroup_id_y 0
		.amdhsa_system_sgpr_workgroup_id_z 0
		.amdhsa_system_sgpr_workgroup_info 0
		.amdhsa_system_vgpr_workitem_id 0
		.amdhsa_next_free_vgpr 9
		.amdhsa_next_free_sgpr 7
		.amdhsa_accum_offset 12
		.amdhsa_reserve_vcc 1
		.amdhsa_reserve_flat_scratch 0
		.amdhsa_float_round_mode_32 0
		.amdhsa_float_round_mode_16_64 0
		.amdhsa_float_denorm_mode_32 3
		.amdhsa_float_denorm_mode_16_64 3
		.amdhsa_dx10_clamp 1
		.amdhsa_ieee_mode 1
		.amdhsa_fp16_overflow 0
		.amdhsa_tg_split 0
		.amdhsa_exception_fp_ieee_invalid_op 0
		.amdhsa_exception_fp_denorm_src 0
		.amdhsa_exception_fp_ieee_div_zero 0
		.amdhsa_exception_fp_ieee_overflow 0
		.amdhsa_exception_fp_ieee_underflow 0
		.amdhsa_exception_fp_ieee_inexact 0
		.amdhsa_exception_int_div_zero 0
	.end_amdhsa_kernel
	.section	.text._Z6kernelI2upaLj256ELj3ELj100EEvPKT0_PS1_,"axG",@progbits,_Z6kernelI2upaLj256ELj3ELj100EEvPKT0_PS1_,comdat
.Lfunc_end33:
	.size	_Z6kernelI2upaLj256ELj3ELj100EEvPKT0_PS1_, .Lfunc_end33-_Z6kernelI2upaLj256ELj3ELj100EEvPKT0_PS1_
                                        ; -- End function
	.section	.AMDGPU.csdata,"",@progbits
; Kernel info:
; codeLenInByte = 296
; NumSgprs: 11
; NumVgprs: 9
; NumAgprs: 0
; TotalNumVgprs: 9
; ScratchSize: 0
; MemoryBound: 0
; FloatMode: 240
; IeeeMode: 1
; LDSByteSize: 256 bytes/workgroup (compile time only)
; SGPRBlocks: 1
; VGPRBlocks: 1
; NumSGPRsForWavesPerEU: 11
; NumVGPRsForWavesPerEU: 9
; AccumOffset: 12
; Occupancy: 8
; WaveLimiterHint : 0
; COMPUTE_PGM_RSRC2:SCRATCH_EN: 0
; COMPUTE_PGM_RSRC2:USER_SGPR: 6
; COMPUTE_PGM_RSRC2:TRAP_HANDLER: 0
; COMPUTE_PGM_RSRC2:TGID_X_EN: 1
; COMPUTE_PGM_RSRC2:TGID_Y_EN: 0
; COMPUTE_PGM_RSRC2:TGID_Z_EN: 0
; COMPUTE_PGM_RSRC2:TIDIG_COMP_CNT: 0
; COMPUTE_PGM_RSRC3_GFX90A:ACCUM_OFFSET: 2
; COMPUTE_PGM_RSRC3_GFX90A:TG_SPLIT: 0
	.section	.text._Z6kernelI2upaLj256ELj4ELj100EEvPKT0_PS1_,"axG",@progbits,_Z6kernelI2upaLj256ELj4ELj100EEvPKT0_PS1_,comdat
	.protected	_Z6kernelI2upaLj256ELj4ELj100EEvPKT0_PS1_ ; -- Begin function _Z6kernelI2upaLj256ELj4ELj100EEvPKT0_PS1_
	.globl	_Z6kernelI2upaLj256ELj4ELj100EEvPKT0_PS1_
	.p2align	8
	.type	_Z6kernelI2upaLj256ELj4ELj100EEvPKT0_PS1_,@function
_Z6kernelI2upaLj256ELj4ELj100EEvPKT0_PS1_: ; @_Z6kernelI2upaLj256ELj4ELj100EEvPKT0_PS1_
; %bb.0:
	s_load_dwordx4 s[0:3], s[4:5], 0x0
	v_lshlrev_b32_e32 v1, 2, v0
	v_lshl_or_b32 v2, s6, 10, v1
	v_cmp_ne_u32_e32 vcc, 0, v0
	v_add_u32_e32 v3, -1, v0
	s_waitcnt lgkmcnt(0)
	global_load_dword v1, v2, s[0:1]
	s_movk_i32 s4, 0x64
	s_mov_b32 s5, 0x6050404
	s_mov_b32 s6, 0x3020104
	s_branch .LBB34_2
.LBB34_1:                               ;   in Loop: Header=BB34_2 Depth=1
	s_or_b64 exec, exec, s[0:1]
	s_add_i32 s4, s4, -1
	s_cmp_lg_u32 s4, 0
	s_barrier
	s_cbranch_scc0 .LBB34_4
.LBB34_2:                               ; =>This Inner Loop Header: Depth=1
	s_waitcnt vmcnt(0)
	v_lshrrev_b32_e32 v4, 24, v1
	v_perm_b32 v1, v1, v1, s5
	ds_write_b8 v0, v4
	s_waitcnt lgkmcnt(0)
	s_barrier
	s_and_saveexec_b64 s[0:1], vcc
	s_cbranch_execz .LBB34_1
; %bb.3:                                ;   in Loop: Header=BB34_2 Depth=1
	ds_read_u8 v4, v3
	s_waitcnt lgkmcnt(0)
	v_perm_b32 v1, v4, v1, s6
	s_branch .LBB34_1
.LBB34_4:
	v_mov_b32_e32 v0, s3
	v_add_co_u32_e32 v2, vcc, s2, v2
	v_addc_co_u32_e32 v3, vcc, 0, v0, vcc
	global_store_dword v[2:3], v1, off
	s_endpgm
	.section	.rodata,"a",@progbits
	.p2align	6, 0x0
	.amdhsa_kernel _Z6kernelI2upaLj256ELj4ELj100EEvPKT0_PS1_
		.amdhsa_group_segment_fixed_size 256
		.amdhsa_private_segment_fixed_size 0
		.amdhsa_kernarg_size 16
		.amdhsa_user_sgpr_count 6
		.amdhsa_user_sgpr_private_segment_buffer 1
		.amdhsa_user_sgpr_dispatch_ptr 0
		.amdhsa_user_sgpr_queue_ptr 0
		.amdhsa_user_sgpr_kernarg_segment_ptr 1
		.amdhsa_user_sgpr_dispatch_id 0
		.amdhsa_user_sgpr_flat_scratch_init 0
		.amdhsa_user_sgpr_kernarg_preload_length 0
		.amdhsa_user_sgpr_kernarg_preload_offset 0
		.amdhsa_user_sgpr_private_segment_size 0
		.amdhsa_uses_dynamic_stack 0
		.amdhsa_system_sgpr_private_segment_wavefront_offset 0
		.amdhsa_system_sgpr_workgroup_id_x 1
		.amdhsa_system_sgpr_workgroup_id_y 0
		.amdhsa_system_sgpr_workgroup_id_z 0
		.amdhsa_system_sgpr_workgroup_info 0
		.amdhsa_system_vgpr_workitem_id 0
		.amdhsa_next_free_vgpr 5
		.amdhsa_next_free_sgpr 7
		.amdhsa_accum_offset 8
		.amdhsa_reserve_vcc 1
		.amdhsa_reserve_flat_scratch 0
		.amdhsa_float_round_mode_32 0
		.amdhsa_float_round_mode_16_64 0
		.amdhsa_float_denorm_mode_32 3
		.amdhsa_float_denorm_mode_16_64 3
		.amdhsa_dx10_clamp 1
		.amdhsa_ieee_mode 1
		.amdhsa_fp16_overflow 0
		.amdhsa_tg_split 0
		.amdhsa_exception_fp_ieee_invalid_op 0
		.amdhsa_exception_fp_denorm_src 0
		.amdhsa_exception_fp_ieee_div_zero 0
		.amdhsa_exception_fp_ieee_overflow 0
		.amdhsa_exception_fp_ieee_underflow 0
		.amdhsa_exception_fp_ieee_inexact 0
		.amdhsa_exception_int_div_zero 0
	.end_amdhsa_kernel
	.section	.text._Z6kernelI2upaLj256ELj4ELj100EEvPKT0_PS1_,"axG",@progbits,_Z6kernelI2upaLj256ELj4ELj100EEvPKT0_PS1_,comdat
.Lfunc_end34:
	.size	_Z6kernelI2upaLj256ELj4ELj100EEvPKT0_PS1_, .Lfunc_end34-_Z6kernelI2upaLj256ELj4ELj100EEvPKT0_PS1_
                                        ; -- End function
	.section	.AMDGPU.csdata,"",@progbits
; Kernel info:
; codeLenInByte = 172
; NumSgprs: 11
; NumVgprs: 5
; NumAgprs: 0
; TotalNumVgprs: 5
; ScratchSize: 0
; MemoryBound: 0
; FloatMode: 240
; IeeeMode: 1
; LDSByteSize: 256 bytes/workgroup (compile time only)
; SGPRBlocks: 1
; VGPRBlocks: 0
; NumSGPRsForWavesPerEU: 11
; NumVGPRsForWavesPerEU: 5
; AccumOffset: 8
; Occupancy: 8
; WaveLimiterHint : 0
; COMPUTE_PGM_RSRC2:SCRATCH_EN: 0
; COMPUTE_PGM_RSRC2:USER_SGPR: 6
; COMPUTE_PGM_RSRC2:TRAP_HANDLER: 0
; COMPUTE_PGM_RSRC2:TGID_X_EN: 1
; COMPUTE_PGM_RSRC2:TGID_Y_EN: 0
; COMPUTE_PGM_RSRC2:TGID_Z_EN: 0
; COMPUTE_PGM_RSRC2:TIDIG_COMP_CNT: 0
; COMPUTE_PGM_RSRC3_GFX90A:ACCUM_OFFSET: 1
; COMPUTE_PGM_RSRC3_GFX90A:TG_SPLIT: 0
	.section	.text._Z6kernelI2upaLj256ELj8ELj100EEvPKT0_PS1_,"axG",@progbits,_Z6kernelI2upaLj256ELj8ELj100EEvPKT0_PS1_,comdat
	.protected	_Z6kernelI2upaLj256ELj8ELj100EEvPKT0_PS1_ ; -- Begin function _Z6kernelI2upaLj256ELj8ELj100EEvPKT0_PS1_
	.globl	_Z6kernelI2upaLj256ELj8ELj100EEvPKT0_PS1_
	.p2align	8
	.type	_Z6kernelI2upaLj256ELj8ELj100EEvPKT0_PS1_,@function
_Z6kernelI2upaLj256ELj8ELj100EEvPKT0_PS1_: ; @_Z6kernelI2upaLj256ELj8ELj100EEvPKT0_PS1_
; %bb.0:
	s_load_dwordx4 s[0:3], s[4:5], 0x0
	v_lshlrev_b32_e32 v1, 3, v0
	v_lshl_or_b32 v4, s6, 11, v1
	v_cmp_ne_u32_e32 vcc, 0, v0
	v_add_u32_e32 v1, -1, v0
	s_waitcnt lgkmcnt(0)
	global_load_dwordx2 v[2:3], v4, s[0:1]
	s_movk_i32 s4, 0x64
	s_mov_b32 s5, 0x2010007
	s_mov_b32 s6, 0x6050404
	;; [unrolled: 1-line block ×3, first 2 shown]
	s_branch .LBB35_2
.LBB35_1:                               ;   in Loop: Header=BB35_2 Depth=1
	s_or_b64 exec, exec, s[0:1]
	s_add_i32 s4, s4, -1
	s_cmp_lg_u32 s4, 0
	s_barrier
	s_cbranch_scc0 .LBB35_4
.LBB35_2:                               ; =>This Inner Loop Header: Depth=1
	s_waitcnt vmcnt(0)
	v_lshrrev_b32_e32 v5, 24, v3
	v_perm_b32 v3, v2, v3, s5
	v_perm_b32 v2, v2, v2, s6
	ds_write_b8 v0, v5
	s_waitcnt lgkmcnt(0)
	s_barrier
	s_and_saveexec_b64 s[0:1], vcc
	s_cbranch_execz .LBB35_1
; %bb.3:                                ;   in Loop: Header=BB35_2 Depth=1
	ds_read_u8 v5, v1
	s_waitcnt lgkmcnt(0)
	v_perm_b32 v2, v5, v2, s7
	s_branch .LBB35_1
.LBB35_4:
	v_mov_b32_e32 v1, s3
	v_add_co_u32_e32 v0, vcc, s2, v4
	v_addc_co_u32_e32 v1, vcc, 0, v1, vcc
	global_store_dwordx2 v[0:1], v[2:3], off
	s_endpgm
	.section	.rodata,"a",@progbits
	.p2align	6, 0x0
	.amdhsa_kernel _Z6kernelI2upaLj256ELj8ELj100EEvPKT0_PS1_
		.amdhsa_group_segment_fixed_size 256
		.amdhsa_private_segment_fixed_size 0
		.amdhsa_kernarg_size 16
		.amdhsa_user_sgpr_count 6
		.amdhsa_user_sgpr_private_segment_buffer 1
		.amdhsa_user_sgpr_dispatch_ptr 0
		.amdhsa_user_sgpr_queue_ptr 0
		.amdhsa_user_sgpr_kernarg_segment_ptr 1
		.amdhsa_user_sgpr_dispatch_id 0
		.amdhsa_user_sgpr_flat_scratch_init 0
		.amdhsa_user_sgpr_kernarg_preload_length 0
		.amdhsa_user_sgpr_kernarg_preload_offset 0
		.amdhsa_user_sgpr_private_segment_size 0
		.amdhsa_uses_dynamic_stack 0
		.amdhsa_system_sgpr_private_segment_wavefront_offset 0
		.amdhsa_system_sgpr_workgroup_id_x 1
		.amdhsa_system_sgpr_workgroup_id_y 0
		.amdhsa_system_sgpr_workgroup_id_z 0
		.amdhsa_system_sgpr_workgroup_info 0
		.amdhsa_system_vgpr_workitem_id 0
		.amdhsa_next_free_vgpr 6
		.amdhsa_next_free_sgpr 8
		.amdhsa_accum_offset 8
		.amdhsa_reserve_vcc 1
		.amdhsa_reserve_flat_scratch 0
		.amdhsa_float_round_mode_32 0
		.amdhsa_float_round_mode_16_64 0
		.amdhsa_float_denorm_mode_32 3
		.amdhsa_float_denorm_mode_16_64 3
		.amdhsa_dx10_clamp 1
		.amdhsa_ieee_mode 1
		.amdhsa_fp16_overflow 0
		.amdhsa_tg_split 0
		.amdhsa_exception_fp_ieee_invalid_op 0
		.amdhsa_exception_fp_denorm_src 0
		.amdhsa_exception_fp_ieee_div_zero 0
		.amdhsa_exception_fp_ieee_overflow 0
		.amdhsa_exception_fp_ieee_underflow 0
		.amdhsa_exception_fp_ieee_inexact 0
		.amdhsa_exception_int_div_zero 0
	.end_amdhsa_kernel
	.section	.text._Z6kernelI2upaLj256ELj8ELj100EEvPKT0_PS1_,"axG",@progbits,_Z6kernelI2upaLj256ELj8ELj100EEvPKT0_PS1_,comdat
.Lfunc_end35:
	.size	_Z6kernelI2upaLj256ELj8ELj100EEvPKT0_PS1_, .Lfunc_end35-_Z6kernelI2upaLj256ELj8ELj100EEvPKT0_PS1_
                                        ; -- End function
	.section	.AMDGPU.csdata,"",@progbits
; Kernel info:
; codeLenInByte = 188
; NumSgprs: 12
; NumVgprs: 6
; NumAgprs: 0
; TotalNumVgprs: 6
; ScratchSize: 0
; MemoryBound: 0
; FloatMode: 240
; IeeeMode: 1
; LDSByteSize: 256 bytes/workgroup (compile time only)
; SGPRBlocks: 1
; VGPRBlocks: 0
; NumSGPRsForWavesPerEU: 12
; NumVGPRsForWavesPerEU: 6
; AccumOffset: 8
; Occupancy: 8
; WaveLimiterHint : 0
; COMPUTE_PGM_RSRC2:SCRATCH_EN: 0
; COMPUTE_PGM_RSRC2:USER_SGPR: 6
; COMPUTE_PGM_RSRC2:TRAP_HANDLER: 0
; COMPUTE_PGM_RSRC2:TGID_X_EN: 1
; COMPUTE_PGM_RSRC2:TGID_Y_EN: 0
; COMPUTE_PGM_RSRC2:TGID_Z_EN: 0
; COMPUTE_PGM_RSRC2:TIDIG_COMP_CNT: 0
; COMPUTE_PGM_RSRC3_GFX90A:ACCUM_OFFSET: 1
; COMPUTE_PGM_RSRC3_GFX90A:TG_SPLIT: 0
	.section	.text._Z6kernelI2upaLj256ELj16ELj100EEvPKT0_PS1_,"axG",@progbits,_Z6kernelI2upaLj256ELj16ELj100EEvPKT0_PS1_,comdat
	.protected	_Z6kernelI2upaLj256ELj16ELj100EEvPKT0_PS1_ ; -- Begin function _Z6kernelI2upaLj256ELj16ELj100EEvPKT0_PS1_
	.globl	_Z6kernelI2upaLj256ELj16ELj100EEvPKT0_PS1_
	.p2align	8
	.type	_Z6kernelI2upaLj256ELj16ELj100EEvPKT0_PS1_,@function
_Z6kernelI2upaLj256ELj16ELj100EEvPKT0_PS1_: ; @_Z6kernelI2upaLj256ELj16ELj100EEvPKT0_PS1_
; %bb.0:
	s_load_dwordx4 s[0:3], s[4:5], 0x0
	v_lshlrev_b32_e32 v1, 4, v0
	v_lshl_or_b32 v6, s6, 12, v1
	v_cmp_ne_u32_e32 vcc, 0, v0
	v_add_u32_e32 v1, -1, v0
	s_waitcnt lgkmcnt(0)
	global_load_dwordx4 v[2:5], v6, s[0:1]
	s_movk_i32 s4, 0x64
	s_mov_b32 s5, 0x2010007
	s_mov_b32 s6, 0x6050404
	;; [unrolled: 1-line block ×3, first 2 shown]
	v_mov_b32_e32 v7, 8
	s_branch .LBB36_2
.LBB36_1:                               ;   in Loop: Header=BB36_2 Depth=1
	s_or_b64 exec, exec, s[0:1]
	s_add_i32 s4, s4, -1
	s_cmp_lg_u32 s4, 0
	v_mov_b32_e32 v4, v8
	s_barrier
	s_cbranch_scc0 .LBB36_4
.LBB36_2:                               ; =>This Inner Loop Header: Depth=1
	s_waitcnt vmcnt(0)
	v_perm_b32 v9, v4, v5, s5
	v_lshrrev_b32_e32 v10, 24, v9
	v_lshrrev_b32_e32 v8, 24, v5
	v_lshrrev_b32_sdwa v11, v7, v9 dst_sel:BYTE_1 dst_unused:UNUSED_PAD src0_sel:DWORD src1_sel:DWORD
	v_lshlrev_b16_e32 v10, 8, v10
	ds_write_b8 v0, v8
	v_perm_b32 v8, v3, v4, s5
	v_or_b32_sdwa v4, v4, v11 dst_sel:DWORD dst_unused:UNUSED_PAD src0_sel:BYTE_3 src1_sel:DWORD
	v_or_b32_sdwa v5, v5, v10 dst_sel:WORD_1 dst_unused:UNUSED_PAD src0_sel:BYTE_1 src1_sel:DWORD
	v_perm_b32 v3, v2, v3, s5
	v_perm_b32 v2, v2, v2, s6
	v_or_b32_sdwa v5, v4, v5 dst_sel:DWORD dst_unused:UNUSED_PAD src0_sel:WORD_0 src1_sel:DWORD
	s_waitcnt lgkmcnt(0)
	s_barrier
	s_and_saveexec_b64 s[0:1], vcc
	s_cbranch_execz .LBB36_1
; %bb.3:                                ;   in Loop: Header=BB36_2 Depth=1
	ds_read_u8 v4, v1
	v_mov_b32_e32 v5, v9
	s_waitcnt lgkmcnt(0)
	v_perm_b32 v2, v4, v2, s7
	s_branch .LBB36_1
.LBB36_4:
	v_mov_b32_e32 v1, s3
	v_add_co_u32_e32 v0, vcc, s2, v6
	v_mov_b32_e32 v4, v8
	v_addc_co_u32_e32 v1, vcc, 0, v1, vcc
	global_store_dwordx4 v[0:1], v[2:5], off
	s_endpgm
	.section	.rodata,"a",@progbits
	.p2align	6, 0x0
	.amdhsa_kernel _Z6kernelI2upaLj256ELj16ELj100EEvPKT0_PS1_
		.amdhsa_group_segment_fixed_size 256
		.amdhsa_private_segment_fixed_size 0
		.amdhsa_kernarg_size 16
		.amdhsa_user_sgpr_count 6
		.amdhsa_user_sgpr_private_segment_buffer 1
		.amdhsa_user_sgpr_dispatch_ptr 0
		.amdhsa_user_sgpr_queue_ptr 0
		.amdhsa_user_sgpr_kernarg_segment_ptr 1
		.amdhsa_user_sgpr_dispatch_id 0
		.amdhsa_user_sgpr_flat_scratch_init 0
		.amdhsa_user_sgpr_kernarg_preload_length 0
		.amdhsa_user_sgpr_kernarg_preload_offset 0
		.amdhsa_user_sgpr_private_segment_size 0
		.amdhsa_uses_dynamic_stack 0
		.amdhsa_system_sgpr_private_segment_wavefront_offset 0
		.amdhsa_system_sgpr_workgroup_id_x 1
		.amdhsa_system_sgpr_workgroup_id_y 0
		.amdhsa_system_sgpr_workgroup_id_z 0
		.amdhsa_system_sgpr_workgroup_info 0
		.amdhsa_system_vgpr_workitem_id 0
		.amdhsa_next_free_vgpr 12
		.amdhsa_next_free_sgpr 8
		.amdhsa_accum_offset 12
		.amdhsa_reserve_vcc 1
		.amdhsa_reserve_flat_scratch 0
		.amdhsa_float_round_mode_32 0
		.amdhsa_float_round_mode_16_64 0
		.amdhsa_float_denorm_mode_32 3
		.amdhsa_float_denorm_mode_16_64 3
		.amdhsa_dx10_clamp 1
		.amdhsa_ieee_mode 1
		.amdhsa_fp16_overflow 0
		.amdhsa_tg_split 0
		.amdhsa_exception_fp_ieee_invalid_op 0
		.amdhsa_exception_fp_denorm_src 0
		.amdhsa_exception_fp_ieee_div_zero 0
		.amdhsa_exception_fp_ieee_overflow 0
		.amdhsa_exception_fp_ieee_underflow 0
		.amdhsa_exception_fp_ieee_inexact 0
		.amdhsa_exception_int_div_zero 0
	.end_amdhsa_kernel
	.section	.text._Z6kernelI2upaLj256ELj16ELj100EEvPKT0_PS1_,"axG",@progbits,_Z6kernelI2upaLj256ELj16ELj100EEvPKT0_PS1_,comdat
.Lfunc_end36:
	.size	_Z6kernelI2upaLj256ELj16ELj100EEvPKT0_PS1_, .Lfunc_end36-_Z6kernelI2upaLj256ELj16ELj100EEvPKT0_PS1_
                                        ; -- End function
	.section	.AMDGPU.csdata,"",@progbits
; Kernel info:
; codeLenInByte = 260
; NumSgprs: 12
; NumVgprs: 12
; NumAgprs: 0
; TotalNumVgprs: 12
; ScratchSize: 0
; MemoryBound: 0
; FloatMode: 240
; IeeeMode: 1
; LDSByteSize: 256 bytes/workgroup (compile time only)
; SGPRBlocks: 1
; VGPRBlocks: 1
; NumSGPRsForWavesPerEU: 12
; NumVGPRsForWavesPerEU: 12
; AccumOffset: 12
; Occupancy: 8
; WaveLimiterHint : 0
; COMPUTE_PGM_RSRC2:SCRATCH_EN: 0
; COMPUTE_PGM_RSRC2:USER_SGPR: 6
; COMPUTE_PGM_RSRC2:TRAP_HANDLER: 0
; COMPUTE_PGM_RSRC2:TGID_X_EN: 1
; COMPUTE_PGM_RSRC2:TGID_Y_EN: 0
; COMPUTE_PGM_RSRC2:TGID_Z_EN: 0
; COMPUTE_PGM_RSRC2:TIDIG_COMP_CNT: 0
; COMPUTE_PGM_RSRC3_GFX90A:ACCUM_OFFSET: 2
; COMPUTE_PGM_RSRC3_GFX90A:TG_SPLIT: 0
	.section	.text._Z6kernelI2upaLj256ELj32ELj100EEvPKT0_PS1_,"axG",@progbits,_Z6kernelI2upaLj256ELj32ELj100EEvPKT0_PS1_,comdat
	.protected	_Z6kernelI2upaLj256ELj32ELj100EEvPKT0_PS1_ ; -- Begin function _Z6kernelI2upaLj256ELj32ELj100EEvPKT0_PS1_
	.globl	_Z6kernelI2upaLj256ELj32ELj100EEvPKT0_PS1_
	.p2align	8
	.type	_Z6kernelI2upaLj256ELj32ELj100EEvPKT0_PS1_,@function
_Z6kernelI2upaLj256ELj32ELj100EEvPKT0_PS1_: ; @_Z6kernelI2upaLj256ELj32ELj100EEvPKT0_PS1_
; %bb.0:
	s_load_dwordx4 s[0:3], s[4:5], 0x0
	v_lshlrev_b32_e32 v1, 5, v0
	v_lshl_or_b32 v2, s6, 13, v1
	s_movk_i32 s4, 0x64
	s_mov_b32 s5, 0x2010004
	s_waitcnt lgkmcnt(0)
	global_load_dwordx2 v[12:13], v2, s[0:1] offset:18
	global_load_ushort v1, v2, s[0:1] offset:30
	global_load_dword v23, v2, s[0:1] offset:26
	global_load_sbyte v21, v2, s[0:1] offset:17
	global_load_dwordx2 v[10:11], v2, s[0:1] offset:9
	global_load_sbyte v22, v2, s[0:1] offset:8
	global_load_dwordx2 v[14:15], v2, s[0:1]
	s_mov_b32 s0, 0x70605
	v_cmp_ne_u32_e32 vcc, 0, v0
	v_add_u32_e32 v5, -1, v0
	v_mov_b32_e32 v18, 8
	s_waitcnt vmcnt(5)
	v_and_b32_e32 v1, 0xffff, v1
	s_waitcnt vmcnt(4)
	v_perm_b32 v25, v23, v1, s0
	v_lshrrev_b32_e32 v24, 8, v1
	s_branch .LBB37_2
.LBB37_1:                               ;   in Loop: Header=BB37_2 Depth=1
	s_or_b64 exec, exec, s[0:1]
	v_mov_b32_e32 v6, v12
	v_mov_b32_e32 v7, v13
	v_mov_b32_e32 v8, v10
	v_mov_b32_e32 v9, v11
	v_lshrrev_b32_e32 v10, 16, v6
	v_lshrrev_b32_e32 v11, 16, v7
	;; [unrolled: 1-line block ×3, first 2 shown]
	v_lshlrev_b16_e32 v13, 8, v10
	v_lshlrev_b16_e32 v10, 8, v7
	v_lshlrev_b16_e32 v11, 8, v11
	v_lshlrev_b16_e32 v28, 8, v4
	v_lshlrev_b16_e32 v29, 8, v21
	v_lshrrev_b32_e32 v22, 16, v1
	v_lshrrev_b32_e32 v14, 16, v8
	v_lshlrev_b16_e32 v21, 8, v1
	v_lshlrev_b16_e32 v22, 8, v22
	v_lshrrev_b32_sdwa v34, v18, v11 dst_sel:BYTE_1 dst_unused:UNUSED_PAD src0_sel:DWORD src1_sel:DWORD
	v_lshrrev_b32_sdwa v35, v18, v10 dst_sel:BYTE_1 dst_unused:UNUSED_PAD src0_sel:DWORD src1_sel:DWORD
	;; [unrolled: 1-line block ×4, first 2 shown]
	v_lshlrev_b16_e32 v27, 8, v14
	v_lshlrev_b16_e32 v14, 8, v9
	v_lshrrev_b32_e32 v15, 16, v9
	v_lshrrev_b32_sdwa v30, v18, v22 dst_sel:BYTE_1 dst_unused:UNUSED_PAD src0_sel:DWORD src1_sel:DWORD
	v_lshrrev_b32_sdwa v31, v18, v21 dst_sel:BYTE_1 dst_unused:UNUSED_PAD src0_sel:DWORD src1_sel:DWORD
	s_waitcnt lgkmcnt(0)
	v_or_b32_sdwa v10, v20, v10 dst_sel:DWORD dst_unused:UNUSED_PAD src0_sel:BYTE_0 src1_sel:DWORD
	v_or_b32_sdwa v11, v4, v11 dst_sel:WORD_1 dst_unused:UNUSED_PAD src0_sel:BYTE_1 src1_sel:DWORD
	v_lshlrev_b16_e32 v26, 8, v8
	v_lshlrev_b16_e32 v15, 8, v15
	v_lshrrev_b32_sdwa v33, v18, v14 dst_sel:BYTE_1 dst_unused:UNUSED_PAD src0_sel:DWORD src1_sel:DWORD
	v_or_b32_sdwa v14, v10, v11 dst_sel:DWORD dst_unused:UNUSED_PAD src0_sel:WORD_0 src1_sel:DWORD
	v_or_b32_sdwa v10, v4, v31 dst_sel:DWORD dst_unused:UNUSED_PAD src0_sel:BYTE_3 src1_sel:DWORD
	v_or_b32_sdwa v11, v1, v30 dst_sel:WORD_1 dst_unused:UNUSED_PAD src0_sel:BYTE_1 src1_sel:DWORD
	v_lshlrev_b16_e32 v12, 8, v6
	v_lshrrev_b32_sdwa v32, v18, v15 dst_sel:BYTE_1 dst_unused:UNUSED_PAD src0_sel:DWORD src1_sel:DWORD
	v_or_b32_sdwa v15, v10, v11 dst_sel:DWORD dst_unused:UNUSED_PAD src0_sel:WORD_0 src1_sel:DWORD
	v_lshrrev_b32_sdwa v10, v18, v26 dst_sel:BYTE_1 dst_unused:UNUSED_PAD src0_sel:DWORD src1_sel:DWORD
	v_lshrrev_b32_sdwa v11, v18, v27 dst_sel:BYTE_1 dst_unused:UNUSED_PAD src0_sel:DWORD src1_sel:DWORD
	v_or_b32_sdwa v10, v19, v10 dst_sel:DWORD dst_unused:UNUSED_PAD src0_sel:BYTE_0 src1_sel:DWORD
	v_or_b32_sdwa v11, v8, v11 dst_sel:WORD_1 dst_unused:UNUSED_PAD src0_sel:BYTE_1 src1_sel:DWORD
	v_lshrrev_b32_sdwa v12, v18, v12 dst_sel:BYTE_1 dst_unused:UNUSED_PAD src0_sel:DWORD src1_sel:DWORD
	v_lshrrev_b32_sdwa v13, v18, v13 dst_sel:BYTE_1 dst_unused:UNUSED_PAD src0_sel:DWORD src1_sel:DWORD
	v_or_b32_sdwa v10, v10, v11 dst_sel:DWORD dst_unused:UNUSED_PAD src0_sel:WORD_0 src1_sel:DWORD
	v_or_b32_sdwa v11, v8, v33 dst_sel:DWORD dst_unused:UNUSED_PAD src0_sel:BYTE_3 src1_sel:DWORD
	v_or_b32_sdwa v26, v9, v32 dst_sel:WORD_1 dst_unused:UNUSED_PAD src0_sel:BYTE_1 src1_sel:DWORD
	v_or_b32_sdwa v12, v17, v12 dst_sel:DWORD dst_unused:UNUSED_PAD src0_sel:BYTE_0 src1_sel:DWORD
	v_or_b32_sdwa v13, v6, v13 dst_sel:WORD_1 dst_unused:UNUSED_PAD src0_sel:BYTE_1 src1_sel:DWORD
	v_or_b32_sdwa v11, v11, v26 dst_sel:DWORD dst_unused:UNUSED_PAD src0_sel:WORD_0 src1_sel:DWORD
	v_or_b32_sdwa v12, v12, v13 dst_sel:DWORD dst_unused:UNUSED_PAD src0_sel:WORD_0 src1_sel:DWORD
	v_or_b32_sdwa v13, v6, v35 dst_sel:DWORD dst_unused:UNUSED_PAD src0_sel:BYTE_3 src1_sel:DWORD
	v_or_b32_sdwa v26, v7, v34 dst_sel:WORD_1 dst_unused:UNUSED_PAD src0_sel:BYTE_1 src1_sel:DWORD
	s_add_i32 s4, s4, -1
	v_lshrrev_b32_e32 v22, 24, v1
	v_lshrrev_b32_e32 v21, 24, v9
	;; [unrolled: 1-line block ×3, first 2 shown]
	v_perm_b32 v25, v16, v3, s5
	v_lshrrev_b32_e32 v24, 24, v3
	s_cmp_lg_u32 s4, 0
	v_or_b32_sdwa v13, v13, v26 dst_sel:DWORD dst_unused:UNUSED_PAD src0_sel:WORD_0 src1_sel:DWORD
	s_barrier
	s_cbranch_scc0 .LBB37_4
.LBB37_2:                               ; =>This Inner Loop Header: Depth=1
	s_waitcnt vmcnt(0)
	v_mov_b32_e32 v1, v15
	v_mov_b32_e32 v4, v14
	;; [unrolled: 1-line block ×7, first 2 shown]
	ds_write_b8 v0, v24
	s_waitcnt lgkmcnt(0)
	s_barrier
	s_and_saveexec_b64 s[0:1], vcc
	s_cbranch_execz .LBB37_1
; %bb.3:                                ;   in Loop: Header=BB37_2 Depth=1
	ds_read_u8 v20, v5
	s_branch .LBB37_1
.LBB37_4:
	v_mov_b32_e32 v0, s3
	v_add_co_u32_e32 v10, vcc, s2, v2
	v_lshrrev_b32_e32 v2, 16, v4
	v_addc_co_u32_e32 v11, vcc, 0, v0, vcc
	v_lshrrev_b32_e32 v0, 8, v4
	v_lshlrev_b16_e32 v5, 8, v4
	v_lshlrev_b16_e32 v2, 8, v2
	v_or_b32_sdwa v5, v20, v5 dst_sel:DWORD dst_unused:UNUSED_PAD src0_sel:BYTE_0 src1_sel:DWORD
	v_or_b32_sdwa v0, v0, v2 dst_sel:WORD_1 dst_unused:UNUSED_PAD src0_sel:BYTE_0 src1_sel:DWORD
	v_or_b32_sdwa v12, v5, v0 dst_sel:DWORD dst_unused:UNUSED_PAD src0_sel:WORD_0 src1_sel:DWORD
	v_lshlrev_b16_e32 v0, 8, v19
	s_mov_b32 s0, 0x2010007
	v_or_b32_sdwa v0, v1, v0 dst_sel:DWORD dst_unused:UNUSED_PAD src0_sel:BYTE_3 src1_sel:DWORD
	v_perm_b32 v13, v4, v1, s0
	global_store_short v[10:11], v0, off offset:8
	global_store_dwordx2 v[10:11], v[12:13], off
	global_store_byte v[10:11], v17, off offset:18
	global_store_dwordx2 v[10:11], v[8:9], off offset:10
	v_lshrrev_b32_e32 v0, 24, v3
	s_mov_b32 s0, 0x2010004
	v_perm_b32 v1, v16, v3, s0
	global_store_byte v[10:11], v0, off offset:31
	global_store_dword v[10:11], v1, off offset:27
	global_store_dwordx2 v[10:11], v[6:7], off offset:19
	s_endpgm
	.section	.rodata,"a",@progbits
	.p2align	6, 0x0
	.amdhsa_kernel _Z6kernelI2upaLj256ELj32ELj100EEvPKT0_PS1_
		.amdhsa_group_segment_fixed_size 256
		.amdhsa_private_segment_fixed_size 0
		.amdhsa_kernarg_size 16
		.amdhsa_user_sgpr_count 6
		.amdhsa_user_sgpr_private_segment_buffer 1
		.amdhsa_user_sgpr_dispatch_ptr 0
		.amdhsa_user_sgpr_queue_ptr 0
		.amdhsa_user_sgpr_kernarg_segment_ptr 1
		.amdhsa_user_sgpr_dispatch_id 0
		.amdhsa_user_sgpr_flat_scratch_init 0
		.amdhsa_user_sgpr_kernarg_preload_length 0
		.amdhsa_user_sgpr_kernarg_preload_offset 0
		.amdhsa_user_sgpr_private_segment_size 0
		.amdhsa_uses_dynamic_stack 0
		.amdhsa_system_sgpr_private_segment_wavefront_offset 0
		.amdhsa_system_sgpr_workgroup_id_x 1
		.amdhsa_system_sgpr_workgroup_id_y 0
		.amdhsa_system_sgpr_workgroup_id_z 0
		.amdhsa_system_sgpr_workgroup_info 0
		.amdhsa_system_vgpr_workitem_id 0
		.amdhsa_next_free_vgpr 36
		.amdhsa_next_free_sgpr 7
		.amdhsa_accum_offset 36
		.amdhsa_reserve_vcc 1
		.amdhsa_reserve_flat_scratch 0
		.amdhsa_float_round_mode_32 0
		.amdhsa_float_round_mode_16_64 0
		.amdhsa_float_denorm_mode_32 3
		.amdhsa_float_denorm_mode_16_64 3
		.amdhsa_dx10_clamp 1
		.amdhsa_ieee_mode 1
		.amdhsa_fp16_overflow 0
		.amdhsa_tg_split 0
		.amdhsa_exception_fp_ieee_invalid_op 0
		.amdhsa_exception_fp_denorm_src 0
		.amdhsa_exception_fp_ieee_div_zero 0
		.amdhsa_exception_fp_ieee_overflow 0
		.amdhsa_exception_fp_ieee_underflow 0
		.amdhsa_exception_fp_ieee_inexact 0
		.amdhsa_exception_int_div_zero 0
	.end_amdhsa_kernel
	.section	.text._Z6kernelI2upaLj256ELj32ELj100EEvPKT0_PS1_,"axG",@progbits,_Z6kernelI2upaLj256ELj32ELj100EEvPKT0_PS1_,comdat
.Lfunc_end37:
	.size	_Z6kernelI2upaLj256ELj32ELj100EEvPKT0_PS1_, .Lfunc_end37-_Z6kernelI2upaLj256ELj32ELj100EEvPKT0_PS1_
                                        ; -- End function
	.section	.AMDGPU.csdata,"",@progbits
; Kernel info:
; codeLenInByte = 748
; NumSgprs: 11
; NumVgprs: 36
; NumAgprs: 0
; TotalNumVgprs: 36
; ScratchSize: 0
; MemoryBound: 0
; FloatMode: 240
; IeeeMode: 1
; LDSByteSize: 256 bytes/workgroup (compile time only)
; SGPRBlocks: 1
; VGPRBlocks: 4
; NumSGPRsForWavesPerEU: 11
; NumVGPRsForWavesPerEU: 36
; AccumOffset: 36
; Occupancy: 8
; WaveLimiterHint : 0
; COMPUTE_PGM_RSRC2:SCRATCH_EN: 0
; COMPUTE_PGM_RSRC2:USER_SGPR: 6
; COMPUTE_PGM_RSRC2:TRAP_HANDLER: 0
; COMPUTE_PGM_RSRC2:TGID_X_EN: 1
; COMPUTE_PGM_RSRC2:TGID_Y_EN: 0
; COMPUTE_PGM_RSRC2:TGID_Z_EN: 0
; COMPUTE_PGM_RSRC2:TIDIG_COMP_CNT: 0
; COMPUTE_PGM_RSRC3_GFX90A:ACCUM_OFFSET: 8
; COMPUTE_PGM_RSRC3_GFX90A:TG_SPLIT: 0
	.section	.text._Z6kernelI2upxLj256ELj1ELj100EEvPKT0_PS1_,"axG",@progbits,_Z6kernelI2upxLj256ELj1ELj100EEvPKT0_PS1_,comdat
	.protected	_Z6kernelI2upxLj256ELj1ELj100EEvPKT0_PS1_ ; -- Begin function _Z6kernelI2upxLj256ELj1ELj100EEvPKT0_PS1_
	.globl	_Z6kernelI2upxLj256ELj1ELj100EEvPKT0_PS1_
	.p2align	8
	.type	_Z6kernelI2upxLj256ELj1ELj100EEvPKT0_PS1_,@function
_Z6kernelI2upxLj256ELj1ELj100EEvPKT0_PS1_: ; @_Z6kernelI2upxLj256ELj1ELj100EEvPKT0_PS1_
; %bb.0:
	s_load_dwordx4 s[0:3], s[4:5], 0x0
	v_lshl_or_b32 v2, s6, 8, v0
	v_mov_b32_e32 v3, 0
	v_lshlrev_b64 v[2:3], 3, v[2:3]
	s_movk_i32 s4, 0x64
	s_waitcnt lgkmcnt(0)
	v_mov_b32_e32 v1, s1
	v_add_co_u32_e32 v4, vcc, s0, v2
	v_addc_co_u32_e32 v5, vcc, v1, v3, vcc
	global_load_dwordx2 v[4:5], v[4:5], off
	v_lshlrev_b32_e32 v1, 3, v0
	v_cmp_ne_u32_e32 vcc, 0, v0
	v_add_u32_e32 v0, -8, v1
	s_branch .LBB38_2
.LBB38_1:                               ;   in Loop: Header=BB38_2 Depth=1
	s_or_b64 exec, exec, s[0:1]
	s_add_i32 s4, s4, -1
	s_cmp_lg_u32 s4, 0
	s_waitcnt lgkmcnt(0)
	s_barrier
	s_cbranch_scc0 .LBB38_4
.LBB38_2:                               ; =>This Inner Loop Header: Depth=1
	s_waitcnt vmcnt(0)
	ds_write_b64 v1, v[4:5]
	s_waitcnt lgkmcnt(0)
	s_barrier
	s_and_saveexec_b64 s[0:1], vcc
	s_cbranch_execz .LBB38_1
; %bb.3:                                ;   in Loop: Header=BB38_2 Depth=1
	ds_read_b64 v[4:5], v0
	s_branch .LBB38_1
.LBB38_4:
	v_mov_b32_e32 v1, s3
	v_add_co_u32_e32 v0, vcc, s2, v2
	v_addc_co_u32_e32 v1, vcc, v1, v3, vcc
	global_store_dwordx2 v[0:1], v[4:5], off
	s_endpgm
	.section	.rodata,"a",@progbits
	.p2align	6, 0x0
	.amdhsa_kernel _Z6kernelI2upxLj256ELj1ELj100EEvPKT0_PS1_
		.amdhsa_group_segment_fixed_size 2048
		.amdhsa_private_segment_fixed_size 0
		.amdhsa_kernarg_size 16
		.amdhsa_user_sgpr_count 6
		.amdhsa_user_sgpr_private_segment_buffer 1
		.amdhsa_user_sgpr_dispatch_ptr 0
		.amdhsa_user_sgpr_queue_ptr 0
		.amdhsa_user_sgpr_kernarg_segment_ptr 1
		.amdhsa_user_sgpr_dispatch_id 0
		.amdhsa_user_sgpr_flat_scratch_init 0
		.amdhsa_user_sgpr_kernarg_preload_length 0
		.amdhsa_user_sgpr_kernarg_preload_offset 0
		.amdhsa_user_sgpr_private_segment_size 0
		.amdhsa_uses_dynamic_stack 0
		.amdhsa_system_sgpr_private_segment_wavefront_offset 0
		.amdhsa_system_sgpr_workgroup_id_x 1
		.amdhsa_system_sgpr_workgroup_id_y 0
		.amdhsa_system_sgpr_workgroup_id_z 0
		.amdhsa_system_sgpr_workgroup_info 0
		.amdhsa_system_vgpr_workitem_id 0
		.amdhsa_next_free_vgpr 6
		.amdhsa_next_free_sgpr 7
		.amdhsa_accum_offset 8
		.amdhsa_reserve_vcc 1
		.amdhsa_reserve_flat_scratch 0
		.amdhsa_float_round_mode_32 0
		.amdhsa_float_round_mode_16_64 0
		.amdhsa_float_denorm_mode_32 3
		.amdhsa_float_denorm_mode_16_64 3
		.amdhsa_dx10_clamp 1
		.amdhsa_ieee_mode 1
		.amdhsa_fp16_overflow 0
		.amdhsa_tg_split 0
		.amdhsa_exception_fp_ieee_invalid_op 0
		.amdhsa_exception_fp_denorm_src 0
		.amdhsa_exception_fp_ieee_div_zero 0
		.amdhsa_exception_fp_ieee_overflow 0
		.amdhsa_exception_fp_ieee_underflow 0
		.amdhsa_exception_fp_ieee_inexact 0
		.amdhsa_exception_int_div_zero 0
	.end_amdhsa_kernel
	.section	.text._Z6kernelI2upxLj256ELj1ELj100EEvPKT0_PS1_,"axG",@progbits,_Z6kernelI2upxLj256ELj1ELj100EEvPKT0_PS1_,comdat
.Lfunc_end38:
	.size	_Z6kernelI2upxLj256ELj1ELj100EEvPKT0_PS1_, .Lfunc_end38-_Z6kernelI2upxLj256ELj1ELj100EEvPKT0_PS1_
                                        ; -- End function
	.section	.AMDGPU.csdata,"",@progbits
; Kernel info:
; codeLenInByte = 160
; NumSgprs: 11
; NumVgprs: 6
; NumAgprs: 0
; TotalNumVgprs: 6
; ScratchSize: 0
; MemoryBound: 0
; FloatMode: 240
; IeeeMode: 1
; LDSByteSize: 2048 bytes/workgroup (compile time only)
; SGPRBlocks: 1
; VGPRBlocks: 0
; NumSGPRsForWavesPerEU: 11
; NumVGPRsForWavesPerEU: 6
; AccumOffset: 8
; Occupancy: 8
; WaveLimiterHint : 0
; COMPUTE_PGM_RSRC2:SCRATCH_EN: 0
; COMPUTE_PGM_RSRC2:USER_SGPR: 6
; COMPUTE_PGM_RSRC2:TRAP_HANDLER: 0
; COMPUTE_PGM_RSRC2:TGID_X_EN: 1
; COMPUTE_PGM_RSRC2:TGID_Y_EN: 0
; COMPUTE_PGM_RSRC2:TGID_Z_EN: 0
; COMPUTE_PGM_RSRC2:TIDIG_COMP_CNT: 0
; COMPUTE_PGM_RSRC3_GFX90A:ACCUM_OFFSET: 1
; COMPUTE_PGM_RSRC3_GFX90A:TG_SPLIT: 0
	.section	.text._Z6kernelI2upxLj256ELj3ELj100EEvPKT0_PS1_,"axG",@progbits,_Z6kernelI2upxLj256ELj3ELj100EEvPKT0_PS1_,comdat
	.protected	_Z6kernelI2upxLj256ELj3ELj100EEvPKT0_PS1_ ; -- Begin function _Z6kernelI2upxLj256ELj3ELj100EEvPKT0_PS1_
	.globl	_Z6kernelI2upxLj256ELj3ELj100EEvPKT0_PS1_
	.p2align	8
	.type	_Z6kernelI2upxLj256ELj3ELj100EEvPKT0_PS1_,@function
_Z6kernelI2upxLj256ELj3ELj100EEvPKT0_PS1_: ; @_Z6kernelI2upxLj256ELj3ELj100EEvPKT0_PS1_
; %bb.0:
	s_load_dwordx4 s[0:3], s[4:5], 0x0
	v_lshl_or_b32 v1, s6, 8, v0
	v_lshl_add_u32 v6, v1, 1, v1
	v_mov_b32_e32 v7, 0
	v_lshlrev_b64 v[2:3], 3, v[6:7]
	s_waitcnt lgkmcnt(0)
	v_mov_b32_e32 v1, s1
	v_add_co_u32_e32 v14, vcc, s0, v2
	v_add_u32_e32 v4, 1, v6
	v_mov_b32_e32 v5, v7
	v_addc_co_u32_e32 v15, vcc, v1, v3, vcc
	v_lshlrev_b64 v[4:5], 3, v[4:5]
	v_add_co_u32_e32 v16, vcc, s0, v4
	v_add_u32_e32 v6, 2, v6
	v_addc_co_u32_e32 v17, vcc, v1, v5, vcc
	v_lshlrev_b64 v[6:7], 3, v[6:7]
	v_add_co_u32_e32 v18, vcc, s0, v6
	v_addc_co_u32_e32 v19, vcc, v1, v7, vcc
	global_load_dwordx2 v[10:11], v[14:15], off
	global_load_dwordx2 v[8:9], v[16:17], off
	;; [unrolled: 1-line block ×3, first 2 shown]
	v_lshlrev_b32_e32 v14, 3, v0
	v_cmp_ne_u32_e32 vcc, 0, v0
	v_add_u32_e32 v15, -8, v14
	s_movk_i32 s4, 0x64
.LBB39_1:                               ; =>This Inner Loop Header: Depth=1
	s_waitcnt vmcnt(1)
	v_pk_mov_b32 v[0:1], v[8:9], v[8:9] op_sel:[0,1]
	v_pk_mov_b32 v[8:9], v[10:11], v[10:11] op_sel:[0,1]
	s_waitcnt vmcnt(0)
	ds_write_b64 v14, v[12:13]
	s_waitcnt lgkmcnt(0)
	s_barrier
	s_and_saveexec_b64 s[0:1], vcc
	s_cbranch_execz .LBB39_3
; %bb.2:                                ;   in Loop: Header=BB39_1 Depth=1
	ds_read_b64 v[10:11], v15
.LBB39_3:                               ;   in Loop: Header=BB39_1 Depth=1
	s_or_b64 exec, exec, s[0:1]
	s_add_i32 s4, s4, -1
	s_cmp_lg_u32 s4, 0
	s_waitcnt lgkmcnt(0)
	s_barrier
	s_cbranch_scc0 .LBB39_5
; %bb.4:                                ;   in Loop: Header=BB39_1 Depth=1
	v_pk_mov_b32 v[12:13], v[0:1], v[0:1] op_sel:[0,1]
	s_branch .LBB39_1
.LBB39_5:
	v_mov_b32_e32 v12, s3
	v_add_co_u32_e32 v2, vcc, s2, v2
	v_addc_co_u32_e32 v3, vcc, v12, v3, vcc
	global_store_dwordx2 v[2:3], v[10:11], off
	v_mov_b32_e32 v3, s3
	v_add_co_u32_e32 v2, vcc, s2, v4
	v_addc_co_u32_e32 v3, vcc, v3, v5, vcc
	global_store_dwordx2 v[2:3], v[8:9], off
	;; [unrolled: 4-line block ×3, first 2 shown]
	s_endpgm
	.section	.rodata,"a",@progbits
	.p2align	6, 0x0
	.amdhsa_kernel _Z6kernelI2upxLj256ELj3ELj100EEvPKT0_PS1_
		.amdhsa_group_segment_fixed_size 2048
		.amdhsa_private_segment_fixed_size 0
		.amdhsa_kernarg_size 16
		.amdhsa_user_sgpr_count 6
		.amdhsa_user_sgpr_private_segment_buffer 1
		.amdhsa_user_sgpr_dispatch_ptr 0
		.amdhsa_user_sgpr_queue_ptr 0
		.amdhsa_user_sgpr_kernarg_segment_ptr 1
		.amdhsa_user_sgpr_dispatch_id 0
		.amdhsa_user_sgpr_flat_scratch_init 0
		.amdhsa_user_sgpr_kernarg_preload_length 0
		.amdhsa_user_sgpr_kernarg_preload_offset 0
		.amdhsa_user_sgpr_private_segment_size 0
		.amdhsa_uses_dynamic_stack 0
		.amdhsa_system_sgpr_private_segment_wavefront_offset 0
		.amdhsa_system_sgpr_workgroup_id_x 1
		.amdhsa_system_sgpr_workgroup_id_y 0
		.amdhsa_system_sgpr_workgroup_id_z 0
		.amdhsa_system_sgpr_workgroup_info 0
		.amdhsa_system_vgpr_workitem_id 0
		.amdhsa_next_free_vgpr 20
		.amdhsa_next_free_sgpr 7
		.amdhsa_accum_offset 20
		.amdhsa_reserve_vcc 1
		.amdhsa_reserve_flat_scratch 0
		.amdhsa_float_round_mode_32 0
		.amdhsa_float_round_mode_16_64 0
		.amdhsa_float_denorm_mode_32 3
		.amdhsa_float_denorm_mode_16_64 3
		.amdhsa_dx10_clamp 1
		.amdhsa_ieee_mode 1
		.amdhsa_fp16_overflow 0
		.amdhsa_tg_split 0
		.amdhsa_exception_fp_ieee_invalid_op 0
		.amdhsa_exception_fp_denorm_src 0
		.amdhsa_exception_fp_ieee_div_zero 0
		.amdhsa_exception_fp_ieee_overflow 0
		.amdhsa_exception_fp_ieee_underflow 0
		.amdhsa_exception_fp_ieee_inexact 0
		.amdhsa_exception_int_div_zero 0
	.end_amdhsa_kernel
	.section	.text._Z6kernelI2upxLj256ELj3ELj100EEvPKT0_PS1_,"axG",@progbits,_Z6kernelI2upxLj256ELj3ELj100EEvPKT0_PS1_,comdat
.Lfunc_end39:
	.size	_Z6kernelI2upxLj256ELj3ELj100EEvPKT0_PS1_, .Lfunc_end39-_Z6kernelI2upxLj256ELj3ELj100EEvPKT0_PS1_
                                        ; -- End function
	.section	.AMDGPU.csdata,"",@progbits
; Kernel info:
; codeLenInByte = 292
; NumSgprs: 11
; NumVgprs: 20
; NumAgprs: 0
; TotalNumVgprs: 20
; ScratchSize: 0
; MemoryBound: 0
; FloatMode: 240
; IeeeMode: 1
; LDSByteSize: 2048 bytes/workgroup (compile time only)
; SGPRBlocks: 1
; VGPRBlocks: 2
; NumSGPRsForWavesPerEU: 11
; NumVGPRsForWavesPerEU: 20
; AccumOffset: 20
; Occupancy: 8
; WaveLimiterHint : 0
; COMPUTE_PGM_RSRC2:SCRATCH_EN: 0
; COMPUTE_PGM_RSRC2:USER_SGPR: 6
; COMPUTE_PGM_RSRC2:TRAP_HANDLER: 0
; COMPUTE_PGM_RSRC2:TGID_X_EN: 1
; COMPUTE_PGM_RSRC2:TGID_Y_EN: 0
; COMPUTE_PGM_RSRC2:TGID_Z_EN: 0
; COMPUTE_PGM_RSRC2:TIDIG_COMP_CNT: 0
; COMPUTE_PGM_RSRC3_GFX90A:ACCUM_OFFSET: 4
; COMPUTE_PGM_RSRC3_GFX90A:TG_SPLIT: 0
	.section	.text._Z6kernelI2upxLj256ELj4ELj100EEvPKT0_PS1_,"axG",@progbits,_Z6kernelI2upxLj256ELj4ELj100EEvPKT0_PS1_,comdat
	.protected	_Z6kernelI2upxLj256ELj4ELj100EEvPKT0_PS1_ ; -- Begin function _Z6kernelI2upxLj256ELj4ELj100EEvPKT0_PS1_
	.globl	_Z6kernelI2upxLj256ELj4ELj100EEvPKT0_PS1_
	.p2align	8
	.type	_Z6kernelI2upxLj256ELj4ELj100EEvPKT0_PS1_,@function
_Z6kernelI2upxLj256ELj4ELj100EEvPKT0_PS1_: ; @_Z6kernelI2upxLj256ELj4ELj100EEvPKT0_PS1_
; %bb.0:
	s_load_dwordx4 s[0:3], s[4:5], 0x0
	v_lshlrev_b32_e32 v1, 2, v0
	v_lshl_or_b32 v2, s6, 10, v1
	v_mov_b32_e32 v3, 0
	v_lshlrev_b64 v[10:11], 3, v[2:3]
	s_waitcnt lgkmcnt(0)
	v_mov_b32_e32 v1, s1
	v_add_co_u32_e32 v12, vcc, s0, v10
	v_addc_co_u32_e32 v13, vcc, v1, v11, vcc
	global_load_dwordx4 v[2:5], v[12:13], off offset:16
	global_load_dwordx4 v[6:9], v[12:13], off
	v_lshlrev_b32_e32 v12, 3, v0
	v_cmp_ne_u32_e32 vcc, 0, v0
	v_add_u32_e32 v13, -8, v12
	s_movk_i32 s4, 0x64
.LBB40_1:                               ; =>This Inner Loop Header: Depth=1
	s_waitcnt vmcnt(1)
	v_pk_mov_b32 v[0:1], v[2:3], v[2:3] op_sel:[0,1]
	s_waitcnt vmcnt(0)
	v_pk_mov_b32 v[2:3], v[8:9], v[8:9] op_sel:[0,1]
	v_pk_mov_b32 v[8:9], v[6:7], v[6:7] op_sel:[0,1]
	ds_write_b64 v12, v[4:5]
	s_waitcnt lgkmcnt(0)
	s_barrier
	s_and_saveexec_b64 s[0:1], vcc
	s_cbranch_execz .LBB40_3
; %bb.2:                                ;   in Loop: Header=BB40_1 Depth=1
	ds_read_b64 v[6:7], v13
.LBB40_3:                               ;   in Loop: Header=BB40_1 Depth=1
	s_or_b64 exec, exec, s[0:1]
	s_add_i32 s4, s4, -1
	s_cmp_lg_u32 s4, 0
	s_waitcnt lgkmcnt(0)
	s_barrier
	s_cbranch_scc0 .LBB40_5
; %bb.4:                                ;   in Loop: Header=BB40_1 Depth=1
	v_pk_mov_b32 v[4:5], v[0:1], v[0:1] op_sel:[0,1]
	s_branch .LBB40_1
.LBB40_5:
	v_mov_b32_e32 v4, s3
	v_add_co_u32_e32 v10, vcc, s2, v10
	v_addc_co_u32_e32 v11, vcc, v4, v11, vcc
	v_mov_b32_e32 v4, v0
	v_mov_b32_e32 v5, v1
	global_store_dwordx4 v[10:11], v[6:9], off
	global_store_dwordx4 v[10:11], v[2:5], off offset:16
	s_endpgm
	.section	.rodata,"a",@progbits
	.p2align	6, 0x0
	.amdhsa_kernel _Z6kernelI2upxLj256ELj4ELj100EEvPKT0_PS1_
		.amdhsa_group_segment_fixed_size 2048
		.amdhsa_private_segment_fixed_size 0
		.amdhsa_kernarg_size 16
		.amdhsa_user_sgpr_count 6
		.amdhsa_user_sgpr_private_segment_buffer 1
		.amdhsa_user_sgpr_dispatch_ptr 0
		.amdhsa_user_sgpr_queue_ptr 0
		.amdhsa_user_sgpr_kernarg_segment_ptr 1
		.amdhsa_user_sgpr_dispatch_id 0
		.amdhsa_user_sgpr_flat_scratch_init 0
		.amdhsa_user_sgpr_kernarg_preload_length 0
		.amdhsa_user_sgpr_kernarg_preload_offset 0
		.amdhsa_user_sgpr_private_segment_size 0
		.amdhsa_uses_dynamic_stack 0
		.amdhsa_system_sgpr_private_segment_wavefront_offset 0
		.amdhsa_system_sgpr_workgroup_id_x 1
		.amdhsa_system_sgpr_workgroup_id_y 0
		.amdhsa_system_sgpr_workgroup_id_z 0
		.amdhsa_system_sgpr_workgroup_info 0
		.amdhsa_system_vgpr_workitem_id 0
		.amdhsa_next_free_vgpr 14
		.amdhsa_next_free_sgpr 7
		.amdhsa_accum_offset 16
		.amdhsa_reserve_vcc 1
		.amdhsa_reserve_flat_scratch 0
		.amdhsa_float_round_mode_32 0
		.amdhsa_float_round_mode_16_64 0
		.amdhsa_float_denorm_mode_32 3
		.amdhsa_float_denorm_mode_16_64 3
		.amdhsa_dx10_clamp 1
		.amdhsa_ieee_mode 1
		.amdhsa_fp16_overflow 0
		.amdhsa_tg_split 0
		.amdhsa_exception_fp_ieee_invalid_op 0
		.amdhsa_exception_fp_denorm_src 0
		.amdhsa_exception_fp_ieee_div_zero 0
		.amdhsa_exception_fp_ieee_overflow 0
		.amdhsa_exception_fp_ieee_underflow 0
		.amdhsa_exception_fp_ieee_inexact 0
		.amdhsa_exception_int_div_zero 0
	.end_amdhsa_kernel
	.section	.text._Z6kernelI2upxLj256ELj4ELj100EEvPKT0_PS1_,"axG",@progbits,_Z6kernelI2upxLj256ELj4ELj100EEvPKT0_PS1_,comdat
.Lfunc_end40:
	.size	_Z6kernelI2upxLj256ELj4ELj100EEvPKT0_PS1_, .Lfunc_end40-_Z6kernelI2upxLj256ELj4ELj100EEvPKT0_PS1_
                                        ; -- End function
	.section	.AMDGPU.csdata,"",@progbits
; Kernel info:
; codeLenInByte = 220
; NumSgprs: 11
; NumVgprs: 14
; NumAgprs: 0
; TotalNumVgprs: 14
; ScratchSize: 0
; MemoryBound: 0
; FloatMode: 240
; IeeeMode: 1
; LDSByteSize: 2048 bytes/workgroup (compile time only)
; SGPRBlocks: 1
; VGPRBlocks: 1
; NumSGPRsForWavesPerEU: 11
; NumVGPRsForWavesPerEU: 14
; AccumOffset: 16
; Occupancy: 8
; WaveLimiterHint : 0
; COMPUTE_PGM_RSRC2:SCRATCH_EN: 0
; COMPUTE_PGM_RSRC2:USER_SGPR: 6
; COMPUTE_PGM_RSRC2:TRAP_HANDLER: 0
; COMPUTE_PGM_RSRC2:TGID_X_EN: 1
; COMPUTE_PGM_RSRC2:TGID_Y_EN: 0
; COMPUTE_PGM_RSRC2:TGID_Z_EN: 0
; COMPUTE_PGM_RSRC2:TIDIG_COMP_CNT: 0
; COMPUTE_PGM_RSRC3_GFX90A:ACCUM_OFFSET: 3
; COMPUTE_PGM_RSRC3_GFX90A:TG_SPLIT: 0
	.section	.text._Z6kernelI2upxLj256ELj8ELj100EEvPKT0_PS1_,"axG",@progbits,_Z6kernelI2upxLj256ELj8ELj100EEvPKT0_PS1_,comdat
	.protected	_Z6kernelI2upxLj256ELj8ELj100EEvPKT0_PS1_ ; -- Begin function _Z6kernelI2upxLj256ELj8ELj100EEvPKT0_PS1_
	.globl	_Z6kernelI2upxLj256ELj8ELj100EEvPKT0_PS1_
	.p2align	8
	.type	_Z6kernelI2upxLj256ELj8ELj100EEvPKT0_PS1_,@function
_Z6kernelI2upxLj256ELj8ELj100EEvPKT0_PS1_: ; @_Z6kernelI2upxLj256ELj8ELj100EEvPKT0_PS1_
; %bb.0:
	s_load_dwordx4 s[0:3], s[4:5], 0x0
	v_lshlrev_b32_e32 v1, 3, v0
	v_lshl_or_b32 v2, s6, 11, v1
	v_mov_b32_e32 v3, 0
	v_lshlrev_b64 v[20:21], 3, v[2:3]
	s_waitcnt lgkmcnt(0)
	v_mov_b32_e32 v2, s1
	v_add_co_u32_e32 v18, vcc, s0, v20
	v_addc_co_u32_e32 v19, vcc, v2, v21, vcc
	global_load_dwordx4 v[2:5], v[18:19], off offset:48
	global_load_dwordx4 v[6:9], v[18:19], off offset:32
	;; [unrolled: 1-line block ×3, first 2 shown]
	global_load_dwordx4 v[14:17], v[18:19], off
	v_cmp_ne_u32_e32 vcc, 0, v0
	v_add_u32_e32 v0, -8, v1
	s_movk_i32 s4, 0x64
.LBB41_1:                               ; =>This Inner Loop Header: Depth=1
	s_waitcnt vmcnt(0)
	v_pk_mov_b32 v[18:19], v[14:15], v[14:15] op_sel:[0,1]
	ds_write_b64 v1, v[4:5]
	s_waitcnt lgkmcnt(0)
	s_barrier
	s_and_saveexec_b64 s[0:1], vcc
	s_cbranch_execz .LBB41_3
; %bb.2:                                ;   in Loop: Header=BB41_1 Depth=1
	ds_read_b64 v[18:19], v0
.LBB41_3:                               ;   in Loop: Header=BB41_1 Depth=1
	s_or_b64 exec, exec, s[0:1]
	s_add_i32 s4, s4, -1
	s_cmp_lg_u32 s4, 0
	s_waitcnt lgkmcnt(0)
	s_barrier
	s_cbranch_scc0 .LBB41_5
; %bb.4:                                ;   in Loop: Header=BB41_1 Depth=1
	v_pk_mov_b32 v[4:5], v[2:3], v[2:3] op_sel:[0,1]
	v_pk_mov_b32 v[2:3], v[8:9], v[8:9] op_sel:[0,1]
	;; [unrolled: 1-line block ×8, first 2 shown]
	s_branch .LBB41_1
.LBB41_5:
	v_mov_b32_e32 v0, s3
	v_add_co_u32_e32 v22, vcc, s2, v20
	v_addc_co_u32_e32 v23, vcc, v0, v21, vcc
	v_mov_b32_e32 v20, v14
	v_mov_b32_e32 v21, v15
	;; [unrolled: 1-line block ×10, first 2 shown]
	global_store_dwordx4 v[22:23], v[18:21], off
	global_store_dwordx4 v[22:23], v[14:17], off offset:16
	global_store_dwordx4 v[22:23], v[4:7], off offset:32
	;; [unrolled: 1-line block ×3, first 2 shown]
	s_endpgm
	.section	.rodata,"a",@progbits
	.p2align	6, 0x0
	.amdhsa_kernel _Z6kernelI2upxLj256ELj8ELj100EEvPKT0_PS1_
		.amdhsa_group_segment_fixed_size 2048
		.amdhsa_private_segment_fixed_size 0
		.amdhsa_kernarg_size 16
		.amdhsa_user_sgpr_count 6
		.amdhsa_user_sgpr_private_segment_buffer 1
		.amdhsa_user_sgpr_dispatch_ptr 0
		.amdhsa_user_sgpr_queue_ptr 0
		.amdhsa_user_sgpr_kernarg_segment_ptr 1
		.amdhsa_user_sgpr_dispatch_id 0
		.amdhsa_user_sgpr_flat_scratch_init 0
		.amdhsa_user_sgpr_kernarg_preload_length 0
		.amdhsa_user_sgpr_kernarg_preload_offset 0
		.amdhsa_user_sgpr_private_segment_size 0
		.amdhsa_uses_dynamic_stack 0
		.amdhsa_system_sgpr_private_segment_wavefront_offset 0
		.amdhsa_system_sgpr_workgroup_id_x 1
		.amdhsa_system_sgpr_workgroup_id_y 0
		.amdhsa_system_sgpr_workgroup_id_z 0
		.amdhsa_system_sgpr_workgroup_info 0
		.amdhsa_system_vgpr_workitem_id 0
		.amdhsa_next_free_vgpr 24
		.amdhsa_next_free_sgpr 7
		.amdhsa_accum_offset 24
		.amdhsa_reserve_vcc 1
		.amdhsa_reserve_flat_scratch 0
		.amdhsa_float_round_mode_32 0
		.amdhsa_float_round_mode_16_64 0
		.amdhsa_float_denorm_mode_32 3
		.amdhsa_float_denorm_mode_16_64 3
		.amdhsa_dx10_clamp 1
		.amdhsa_ieee_mode 1
		.amdhsa_fp16_overflow 0
		.amdhsa_tg_split 0
		.amdhsa_exception_fp_ieee_invalid_op 0
		.amdhsa_exception_fp_denorm_src 0
		.amdhsa_exception_fp_ieee_div_zero 0
		.amdhsa_exception_fp_ieee_overflow 0
		.amdhsa_exception_fp_ieee_underflow 0
		.amdhsa_exception_fp_ieee_inexact 0
		.amdhsa_exception_int_div_zero 0
	.end_amdhsa_kernel
	.section	.text._Z6kernelI2upxLj256ELj8ELj100EEvPKT0_PS1_,"axG",@progbits,_Z6kernelI2upxLj256ELj8ELj100EEvPKT0_PS1_,comdat
.Lfunc_end41:
	.size	_Z6kernelI2upxLj256ELj8ELj100EEvPKT0_PS1_, .Lfunc_end41-_Z6kernelI2upxLj256ELj8ELj100EEvPKT0_PS1_
                                        ; -- End function
	.section	.AMDGPU.csdata,"",@progbits
; Kernel info:
; codeLenInByte = 316
; NumSgprs: 11
; NumVgprs: 24
; NumAgprs: 0
; TotalNumVgprs: 24
; ScratchSize: 0
; MemoryBound: 1
; FloatMode: 240
; IeeeMode: 1
; LDSByteSize: 2048 bytes/workgroup (compile time only)
; SGPRBlocks: 1
; VGPRBlocks: 2
; NumSGPRsForWavesPerEU: 11
; NumVGPRsForWavesPerEU: 24
; AccumOffset: 24
; Occupancy: 8
; WaveLimiterHint : 0
; COMPUTE_PGM_RSRC2:SCRATCH_EN: 0
; COMPUTE_PGM_RSRC2:USER_SGPR: 6
; COMPUTE_PGM_RSRC2:TRAP_HANDLER: 0
; COMPUTE_PGM_RSRC2:TGID_X_EN: 1
; COMPUTE_PGM_RSRC2:TGID_Y_EN: 0
; COMPUTE_PGM_RSRC2:TGID_Z_EN: 0
; COMPUTE_PGM_RSRC2:TIDIG_COMP_CNT: 0
; COMPUTE_PGM_RSRC3_GFX90A:ACCUM_OFFSET: 5
; COMPUTE_PGM_RSRC3_GFX90A:TG_SPLIT: 0
	.section	.text._Z6kernelI2upxLj256ELj16ELj100EEvPKT0_PS1_,"axG",@progbits,_Z6kernelI2upxLj256ELj16ELj100EEvPKT0_PS1_,comdat
	.protected	_Z6kernelI2upxLj256ELj16ELj100EEvPKT0_PS1_ ; -- Begin function _Z6kernelI2upxLj256ELj16ELj100EEvPKT0_PS1_
	.globl	_Z6kernelI2upxLj256ELj16ELj100EEvPKT0_PS1_
	.p2align	8
	.type	_Z6kernelI2upxLj256ELj16ELj100EEvPKT0_PS1_,@function
_Z6kernelI2upxLj256ELj16ELj100EEvPKT0_PS1_: ; @_Z6kernelI2upxLj256ELj16ELj100EEvPKT0_PS1_
; %bb.0:
	s_load_dwordx4 s[0:3], s[4:5], 0x0
	v_lshlrev_b32_e32 v1, 4, v0
	v_lshl_or_b32 v2, s6, 12, v1
	v_mov_b32_e32 v3, 0
	v_lshlrev_b64 v[36:37], 3, v[2:3]
	s_waitcnt lgkmcnt(0)
	v_mov_b32_e32 v1, s1
	v_add_co_u32_e32 v34, vcc, s0, v36
	v_addc_co_u32_e32 v35, vcc, v1, v37, vcc
	global_load_dwordx4 v[2:5], v[34:35], off offset:48
	global_load_dwordx4 v[6:9], v[34:35], off offset:32
	;; [unrolled: 1-line block ×3, first 2 shown]
	global_load_dwordx4 v[26:29], v[34:35], off
	global_load_dwordx4 v[10:13], v[34:35], off offset:112
	global_load_dwordx4 v[14:17], v[34:35], off offset:96
	;; [unrolled: 1-line block ×4, first 2 shown]
	v_lshlrev_b32_e32 v1, 3, v0
	v_cmp_ne_u32_e32 vcc, 0, v0
	v_add_u32_e32 v0, -8, v1
	s_movk_i32 s4, 0x64
.LBB42_1:                               ; =>This Inner Loop Header: Depth=1
	s_waitcnt vmcnt(4)
	v_pk_mov_b32 v[34:35], v[26:27], v[26:27] op_sel:[0,1]
	s_waitcnt vmcnt(3)
	ds_write_b64 v1, v[12:13]
	s_waitcnt lgkmcnt(0)
	s_barrier
	s_and_saveexec_b64 s[0:1], vcc
	s_cbranch_execz .LBB42_3
; %bb.2:                                ;   in Loop: Header=BB42_1 Depth=1
	ds_read_b64 v[34:35], v0
.LBB42_3:                               ;   in Loop: Header=BB42_1 Depth=1
	s_or_b64 exec, exec, s[0:1]
	s_add_i32 s4, s4, -1
	s_cmp_lg_u32 s4, 0
	s_waitcnt lgkmcnt(0)
	s_barrier
	s_cbranch_scc0 .LBB42_5
; %bb.4:                                ;   in Loop: Header=BB42_1 Depth=1
	v_pk_mov_b32 v[12:13], v[10:11], v[10:11] op_sel:[0,1]
	s_waitcnt vmcnt(2)
	v_pk_mov_b32 v[10:11], v[16:17], v[16:17] op_sel:[0,1]
	v_pk_mov_b32 v[16:17], v[14:15], v[14:15] op_sel:[0,1]
	s_waitcnt vmcnt(1)
	v_pk_mov_b32 v[14:15], v[24:25], v[24:25] op_sel:[0,1]
	;; [unrolled: 3-line block ×3, first 2 shown]
	v_pk_mov_b32 v[32:33], v[30:31], v[30:31] op_sel:[0,1]
	v_pk_mov_b32 v[30:31], v[4:5], v[4:5] op_sel:[0,1]
	;; [unrolled: 1-line block ×10, first 2 shown]
	s_branch .LBB42_1
.LBB42_5:
	v_mov_b32_e32 v0, s3
	v_add_co_u32_e32 v12, vcc, s2, v36
	v_addc_co_u32_e32 v13, vcc, v0, v37, vcc
	v_mov_b32_e32 v0, v8
	v_mov_b32_e32 v1, v9
	global_store_dwordx4 v[12:13], v[0:3], off offset:48
	v_mov_b32_e32 v36, v26
	v_mov_b32_e32 v0, v4
	;; [unrolled: 1-line block ×3, first 2 shown]
	s_waitcnt vmcnt(1)
	v_mov_b32_e32 v2, v30
	v_mov_b32_e32 v3, v31
	global_store_dwordx4 v[12:13], v[0:3], off offset:64
	v_mov_b32_e32 v37, v27
	v_mov_b32_e32 v0, v32
	;; [unrolled: 1-line block ×5, first 2 shown]
	global_store_dwordx4 v[12:13], v[0:3], off offset:80
	v_mov_b32_e32 v26, v28
	v_mov_b32_e32 v0, v24
	;; [unrolled: 1-line block ×12, first 2 shown]
	global_store_dwordx4 v[12:13], v[0:3], off offset:96
	global_store_dwordx4 v[12:13], v[34:37], off
	v_mov_b32_e32 v0, v16
	v_mov_b32_e32 v1, v17
	;; [unrolled: 1-line block ×4, first 2 shown]
	global_store_dwordx4 v[12:13], v[26:29], off offset:16
	global_store_dwordx4 v[12:13], v[18:21], off offset:32
	;; [unrolled: 1-line block ×3, first 2 shown]
	s_endpgm
	.section	.rodata,"a",@progbits
	.p2align	6, 0x0
	.amdhsa_kernel _Z6kernelI2upxLj256ELj16ELj100EEvPKT0_PS1_
		.amdhsa_group_segment_fixed_size 2048
		.amdhsa_private_segment_fixed_size 0
		.amdhsa_kernarg_size 16
		.amdhsa_user_sgpr_count 6
		.amdhsa_user_sgpr_private_segment_buffer 1
		.amdhsa_user_sgpr_dispatch_ptr 0
		.amdhsa_user_sgpr_queue_ptr 0
		.amdhsa_user_sgpr_kernarg_segment_ptr 1
		.amdhsa_user_sgpr_dispatch_id 0
		.amdhsa_user_sgpr_flat_scratch_init 0
		.amdhsa_user_sgpr_kernarg_preload_length 0
		.amdhsa_user_sgpr_kernarg_preload_offset 0
		.amdhsa_user_sgpr_private_segment_size 0
		.amdhsa_uses_dynamic_stack 0
		.amdhsa_system_sgpr_private_segment_wavefront_offset 0
		.amdhsa_system_sgpr_workgroup_id_x 1
		.amdhsa_system_sgpr_workgroup_id_y 0
		.amdhsa_system_sgpr_workgroup_id_z 0
		.amdhsa_system_sgpr_workgroup_info 0
		.amdhsa_system_vgpr_workitem_id 0
		.amdhsa_next_free_vgpr 38
		.amdhsa_next_free_sgpr 7
		.amdhsa_accum_offset 40
		.amdhsa_reserve_vcc 1
		.amdhsa_reserve_flat_scratch 0
		.amdhsa_float_round_mode_32 0
		.amdhsa_float_round_mode_16_64 0
		.amdhsa_float_denorm_mode_32 3
		.amdhsa_float_denorm_mode_16_64 3
		.amdhsa_dx10_clamp 1
		.amdhsa_ieee_mode 1
		.amdhsa_fp16_overflow 0
		.amdhsa_tg_split 0
		.amdhsa_exception_fp_ieee_invalid_op 0
		.amdhsa_exception_fp_denorm_src 0
		.amdhsa_exception_fp_ieee_div_zero 0
		.amdhsa_exception_fp_ieee_overflow 0
		.amdhsa_exception_fp_ieee_underflow 0
		.amdhsa_exception_fp_ieee_inexact 0
		.amdhsa_exception_int_div_zero 0
	.end_amdhsa_kernel
	.section	.text._Z6kernelI2upxLj256ELj16ELj100EEvPKT0_PS1_,"axG",@progbits,_Z6kernelI2upxLj256ELj16ELj100EEvPKT0_PS1_,comdat
.Lfunc_end42:
	.size	_Z6kernelI2upxLj256ELj16ELj100EEvPKT0_PS1_, .Lfunc_end42-_Z6kernelI2upxLj256ELj16ELj100EEvPKT0_PS1_
                                        ; -- End function
	.section	.AMDGPU.csdata,"",@progbits
; Kernel info:
; codeLenInByte = 540
; NumSgprs: 11
; NumVgprs: 38
; NumAgprs: 0
; TotalNumVgprs: 38
; ScratchSize: 0
; MemoryBound: 1
; FloatMode: 240
; IeeeMode: 1
; LDSByteSize: 2048 bytes/workgroup (compile time only)
; SGPRBlocks: 1
; VGPRBlocks: 4
; NumSGPRsForWavesPerEU: 11
; NumVGPRsForWavesPerEU: 38
; AccumOffset: 40
; Occupancy: 8
; WaveLimiterHint : 0
; COMPUTE_PGM_RSRC2:SCRATCH_EN: 0
; COMPUTE_PGM_RSRC2:USER_SGPR: 6
; COMPUTE_PGM_RSRC2:TRAP_HANDLER: 0
; COMPUTE_PGM_RSRC2:TGID_X_EN: 1
; COMPUTE_PGM_RSRC2:TGID_Y_EN: 0
; COMPUTE_PGM_RSRC2:TGID_Z_EN: 0
; COMPUTE_PGM_RSRC2:TIDIG_COMP_CNT: 0
; COMPUTE_PGM_RSRC3_GFX90A:ACCUM_OFFSET: 9
; COMPUTE_PGM_RSRC3_GFX90A:TG_SPLIT: 0
	.section	.text._Z6kernelI2upxLj256ELj32ELj100EEvPKT0_PS1_,"axG",@progbits,_Z6kernelI2upxLj256ELj32ELj100EEvPKT0_PS1_,comdat
	.protected	_Z6kernelI2upxLj256ELj32ELj100EEvPKT0_PS1_ ; -- Begin function _Z6kernelI2upxLj256ELj32ELj100EEvPKT0_PS1_
	.globl	_Z6kernelI2upxLj256ELj32ELj100EEvPKT0_PS1_
	.p2align	8
	.type	_Z6kernelI2upxLj256ELj32ELj100EEvPKT0_PS1_,@function
_Z6kernelI2upxLj256ELj32ELj100EEvPKT0_PS1_: ; @_Z6kernelI2upxLj256ELj32ELj100EEvPKT0_PS1_
; %bb.0:
	s_load_dwordx4 s[0:3], s[4:5], 0x0
	v_lshlrev_b32_e32 v1, 5, v0
	v_lshl_or_b32 v2, s6, 13, v1
	v_mov_b32_e32 v3, 0
	v_lshlrev_b64 v[68:69], 3, v[2:3]
	s_waitcnt lgkmcnt(0)
	v_mov_b32_e32 v1, s1
	v_add_co_u32_e32 v62, vcc, s0, v68
	v_addc_co_u32_e32 v63, vcc, v1, v69, vcc
	global_load_dwordx4 v[2:5], v[62:63], off offset:48
	global_load_dwordx4 v[10:13], v[62:63], off offset:32
	;; [unrolled: 1-line block ×3, first 2 shown]
	global_load_dwordx4 v[42:45], v[62:63], off
	global_load_dwordx4 v[6:9], v[62:63], off offset:112
	global_load_dwordx4 v[18:21], v[62:63], off offset:96
	global_load_dwordx4 v[34:37], v[62:63], off offset:80
	global_load_dwordx4 v[50:53], v[62:63], off offset:64
	global_load_dwordx4 v[14:17], v[62:63], off offset:176
	global_load_dwordx4 v[26:29], v[62:63], off offset:160
	global_load_dwordx4 v[46:49], v[62:63], off offset:144
	global_load_dwordx4 v[58:61], v[62:63], off offset:128
	global_load_dwordx4 v[30:33], v[62:63], off offset:240
	global_load_dwordx4 v[38:41], v[62:63], off offset:224
	global_load_dwordx4 v[54:57], v[62:63], off offset:208
	s_nop 0
	global_load_dwordx4 v[62:65], v[62:63], off offset:192
	v_lshlrev_b32_e32 v1, 3, v0
	v_cmp_ne_u32_e32 vcc, 0, v0
	v_add_u32_e32 v0, -8, v1
	s_movk_i32 s4, 0x64
.LBB43_1:                               ; =>This Inner Loop Header: Depth=1
	s_waitcnt vmcnt(12)
	v_pk_mov_b32 v[66:67], v[42:43], v[42:43] op_sel:[0,1]
	s_waitcnt vmcnt(3)
	ds_write_b64 v1, v[32:33]
	s_waitcnt lgkmcnt(0)
	s_barrier
	s_and_saveexec_b64 s[0:1], vcc
	s_cbranch_execz .LBB43_3
; %bb.2:                                ;   in Loop: Header=BB43_1 Depth=1
	ds_read_b64 v[66:67], v0
.LBB43_3:                               ;   in Loop: Header=BB43_1 Depth=1
	s_or_b64 exec, exec, s[0:1]
	s_add_i32 s4, s4, -1
	s_cmp_lg_u32 s4, 0
	s_waitcnt lgkmcnt(0)
	s_barrier
	s_cbranch_scc0 .LBB43_5
; %bb.4:                                ;   in Loop: Header=BB43_1 Depth=1
	v_pk_mov_b32 v[32:33], v[30:31], v[30:31] op_sel:[0,1]
	s_waitcnt vmcnt(2)
	v_pk_mov_b32 v[30:31], v[40:41], v[40:41] op_sel:[0,1]
	v_pk_mov_b32 v[40:41], v[38:39], v[38:39] op_sel:[0,1]
	s_waitcnt vmcnt(1)
	v_pk_mov_b32 v[38:39], v[56:57], v[56:57] op_sel:[0,1]
	;; [unrolled: 3-line block ×3, first 2 shown]
	v_pk_mov_b32 v[64:65], v[62:63], v[62:63] op_sel:[0,1]
	v_pk_mov_b32 v[62:63], v[16:17], v[16:17] op_sel:[0,1]
	;; [unrolled: 1-line block ×26, first 2 shown]
	s_branch .LBB43_1
.LBB43_5:
	v_mov_b32_e32 v0, s3
	v_add_co_u32_e32 v32, vcc, s2, v68
	v_addc_co_u32_e32 v33, vcc, v0, v69, vcc
	v_mov_b32_e32 v0, v12
	v_mov_b32_e32 v1, v13
	global_store_dwordx4 v[32:33], v[0:3], off offset:48
	v_mov_b32_e32 v68, v42
	v_mov_b32_e32 v0, v4
	v_mov_b32_e32 v1, v5
	v_mov_b32_e32 v2, v50
	v_mov_b32_e32 v3, v51
	global_store_dwordx4 v[32:33], v[0:3], off offset:64
	v_mov_b32_e32 v69, v43
	v_mov_b32_e32 v0, v52
	v_mov_b32_e32 v1, v53
	;; [unrolled: 6-line block ×9, first 2 shown]
	s_waitcnt vmcnt(9)
	v_mov_b32_e32 v2, v62
	v_mov_b32_e32 v3, v63
	global_store_dwordx4 v[32:33], v[0:3], off offset:192
	v_mov_b32_e32 v25, v11
	v_mov_b32_e32 v0, v64
	;; [unrolled: 1-line block ×5, first 2 shown]
	global_store_dwordx4 v[32:33], v[0:3], off offset:208
	global_store_dwordx4 v[32:33], v[66:69], off
	v_mov_b32_e32 v0, v56
	v_mov_b32_e32 v1, v57
	;; [unrolled: 1-line block ×4, first 2 shown]
	global_store_dwordx4 v[32:33], v[0:3], off offset:224
	global_store_dwordx4 v[32:33], v[42:45], off offset:16
	v_mov_b32_e32 v0, v40
	v_mov_b32_e32 v1, v41
	;; [unrolled: 1-line block ×4, first 2 shown]
	global_store_dwordx4 v[32:33], v[22:25], off offset:32
	global_store_dwordx4 v[32:33], v[0:3], off offset:240
	s_endpgm
	.section	.rodata,"a",@progbits
	.p2align	6, 0x0
	.amdhsa_kernel _Z6kernelI2upxLj256ELj32ELj100EEvPKT0_PS1_
		.amdhsa_group_segment_fixed_size 2048
		.amdhsa_private_segment_fixed_size 0
		.amdhsa_kernarg_size 16
		.amdhsa_user_sgpr_count 6
		.amdhsa_user_sgpr_private_segment_buffer 1
		.amdhsa_user_sgpr_dispatch_ptr 0
		.amdhsa_user_sgpr_queue_ptr 0
		.amdhsa_user_sgpr_kernarg_segment_ptr 1
		.amdhsa_user_sgpr_dispatch_id 0
		.amdhsa_user_sgpr_flat_scratch_init 0
		.amdhsa_user_sgpr_kernarg_preload_length 0
		.amdhsa_user_sgpr_kernarg_preload_offset 0
		.amdhsa_user_sgpr_private_segment_size 0
		.amdhsa_uses_dynamic_stack 0
		.amdhsa_system_sgpr_private_segment_wavefront_offset 0
		.amdhsa_system_sgpr_workgroup_id_x 1
		.amdhsa_system_sgpr_workgroup_id_y 0
		.amdhsa_system_sgpr_workgroup_id_z 0
		.amdhsa_system_sgpr_workgroup_info 0
		.amdhsa_system_vgpr_workitem_id 0
		.amdhsa_next_free_vgpr 70
		.amdhsa_next_free_sgpr 7
		.amdhsa_accum_offset 72
		.amdhsa_reserve_vcc 1
		.amdhsa_reserve_flat_scratch 0
		.amdhsa_float_round_mode_32 0
		.amdhsa_float_round_mode_16_64 0
		.amdhsa_float_denorm_mode_32 3
		.amdhsa_float_denorm_mode_16_64 3
		.amdhsa_dx10_clamp 1
		.amdhsa_ieee_mode 1
		.amdhsa_fp16_overflow 0
		.amdhsa_tg_split 0
		.amdhsa_exception_fp_ieee_invalid_op 0
		.amdhsa_exception_fp_denorm_src 0
		.amdhsa_exception_fp_ieee_div_zero 0
		.amdhsa_exception_fp_ieee_overflow 0
		.amdhsa_exception_fp_ieee_underflow 0
		.amdhsa_exception_fp_ieee_inexact 0
		.amdhsa_exception_int_div_zero 0
	.end_amdhsa_kernel
	.section	.text._Z6kernelI2upxLj256ELj32ELj100EEvPKT0_PS1_,"axG",@progbits,_Z6kernelI2upxLj256ELj32ELj100EEvPKT0_PS1_,comdat
.Lfunc_end43:
	.size	_Z6kernelI2upxLj256ELj32ELj100EEvPKT0_PS1_, .Lfunc_end43-_Z6kernelI2upxLj256ELj32ELj100EEvPKT0_PS1_
                                        ; -- End function
	.section	.AMDGPU.csdata,"",@progbits
; Kernel info:
; codeLenInByte = 928
; NumSgprs: 11
; NumVgprs: 70
; NumAgprs: 0
; TotalNumVgprs: 70
; ScratchSize: 0
; MemoryBound: 1
; FloatMode: 240
; IeeeMode: 1
; LDSByteSize: 2048 bytes/workgroup (compile time only)
; SGPRBlocks: 1
; VGPRBlocks: 8
; NumSGPRsForWavesPerEU: 11
; NumVGPRsForWavesPerEU: 70
; AccumOffset: 72
; Occupancy: 7
; WaveLimiterHint : 0
; COMPUTE_PGM_RSRC2:SCRATCH_EN: 0
; COMPUTE_PGM_RSRC2:USER_SGPR: 6
; COMPUTE_PGM_RSRC2:TRAP_HANDLER: 0
; COMPUTE_PGM_RSRC2:TGID_X_EN: 1
; COMPUTE_PGM_RSRC2:TGID_Y_EN: 0
; COMPUTE_PGM_RSRC2:TGID_Z_EN: 0
; COMPUTE_PGM_RSRC2:TIDIG_COMP_CNT: 0
; COMPUTE_PGM_RSRC3_GFX90A:ACCUM_OFFSET: 17
; COMPUTE_PGM_RSRC3_GFX90A:TG_SPLIT: 0
	.section	.text._Z6kernelI2upN15benchmark_utils11custom_typeIffEELj256ELj1ELj100EEvPKT0_PS4_,"axG",@progbits,_Z6kernelI2upN15benchmark_utils11custom_typeIffEELj256ELj1ELj100EEvPKT0_PS4_,comdat
	.protected	_Z6kernelI2upN15benchmark_utils11custom_typeIffEELj256ELj1ELj100EEvPKT0_PS4_ ; -- Begin function _Z6kernelI2upN15benchmark_utils11custom_typeIffEELj256ELj1ELj100EEvPKT0_PS4_
	.globl	_Z6kernelI2upN15benchmark_utils11custom_typeIffEELj256ELj1ELj100EEvPKT0_PS4_
	.p2align	8
	.type	_Z6kernelI2upN15benchmark_utils11custom_typeIffEELj256ELj1ELj100EEvPKT0_PS4_,@function
_Z6kernelI2upN15benchmark_utils11custom_typeIffEELj256ELj1ELj100EEvPKT0_PS4_: ; @_Z6kernelI2upN15benchmark_utils11custom_typeIffEELj256ELj1ELj100EEvPKT0_PS4_
; %bb.0:
	s_load_dwordx4 s[0:3], s[4:5], 0x0
	v_lshl_or_b32 v2, s6, 8, v0
	v_mov_b32_e32 v3, 0
	v_lshlrev_b64 v[2:3], 3, v[2:3]
	s_movk_i32 s4, 0x64
	s_waitcnt lgkmcnt(0)
	v_mov_b32_e32 v1, s1
	v_add_co_u32_e32 v4, vcc, s0, v2
	v_addc_co_u32_e32 v5, vcc, v1, v3, vcc
	global_load_dwordx2 v[4:5], v[4:5], off
	v_lshlrev_b32_e32 v1, 3, v0
	v_cmp_ne_u32_e32 vcc, 0, v0
	v_add_u32_e32 v0, -8, v1
	s_branch .LBB44_2
.LBB44_1:                               ;   in Loop: Header=BB44_2 Depth=1
	s_or_b64 exec, exec, s[0:1]
	s_add_i32 s4, s4, -1
	s_cmp_lg_u32 s4, 0
	s_waitcnt lgkmcnt(0)
	s_barrier
	s_cbranch_scc0 .LBB44_4
.LBB44_2:                               ; =>This Inner Loop Header: Depth=1
	s_waitcnt vmcnt(0)
	ds_write2_b32 v1, v4, v5 offset1:1
	s_waitcnt lgkmcnt(0)
	s_barrier
	s_and_saveexec_b64 s[0:1], vcc
	s_cbranch_execz .LBB44_1
; %bb.3:                                ;   in Loop: Header=BB44_2 Depth=1
	ds_read2_b32 v[4:5], v0 offset1:1
	s_branch .LBB44_1
.LBB44_4:
	v_mov_b32_e32 v1, s3
	v_add_co_u32_e32 v0, vcc, s2, v2
	v_addc_co_u32_e32 v1, vcc, v1, v3, vcc
	global_store_dwordx2 v[0:1], v[4:5], off
	s_endpgm
	.section	.rodata,"a",@progbits
	.p2align	6, 0x0
	.amdhsa_kernel _Z6kernelI2upN15benchmark_utils11custom_typeIffEELj256ELj1ELj100EEvPKT0_PS4_
		.amdhsa_group_segment_fixed_size 2048
		.amdhsa_private_segment_fixed_size 0
		.amdhsa_kernarg_size 16
		.amdhsa_user_sgpr_count 6
		.amdhsa_user_sgpr_private_segment_buffer 1
		.amdhsa_user_sgpr_dispatch_ptr 0
		.amdhsa_user_sgpr_queue_ptr 0
		.amdhsa_user_sgpr_kernarg_segment_ptr 1
		.amdhsa_user_sgpr_dispatch_id 0
		.amdhsa_user_sgpr_flat_scratch_init 0
		.amdhsa_user_sgpr_kernarg_preload_length 0
		.amdhsa_user_sgpr_kernarg_preload_offset 0
		.amdhsa_user_sgpr_private_segment_size 0
		.amdhsa_uses_dynamic_stack 0
		.amdhsa_system_sgpr_private_segment_wavefront_offset 0
		.amdhsa_system_sgpr_workgroup_id_x 1
		.amdhsa_system_sgpr_workgroup_id_y 0
		.amdhsa_system_sgpr_workgroup_id_z 0
		.amdhsa_system_sgpr_workgroup_info 0
		.amdhsa_system_vgpr_workitem_id 0
		.amdhsa_next_free_vgpr 6
		.amdhsa_next_free_sgpr 7
		.amdhsa_accum_offset 8
		.amdhsa_reserve_vcc 1
		.amdhsa_reserve_flat_scratch 0
		.amdhsa_float_round_mode_32 0
		.amdhsa_float_round_mode_16_64 0
		.amdhsa_float_denorm_mode_32 3
		.amdhsa_float_denorm_mode_16_64 3
		.amdhsa_dx10_clamp 1
		.amdhsa_ieee_mode 1
		.amdhsa_fp16_overflow 0
		.amdhsa_tg_split 0
		.amdhsa_exception_fp_ieee_invalid_op 0
		.amdhsa_exception_fp_denorm_src 0
		.amdhsa_exception_fp_ieee_div_zero 0
		.amdhsa_exception_fp_ieee_overflow 0
		.amdhsa_exception_fp_ieee_underflow 0
		.amdhsa_exception_fp_ieee_inexact 0
		.amdhsa_exception_int_div_zero 0
	.end_amdhsa_kernel
	.section	.text._Z6kernelI2upN15benchmark_utils11custom_typeIffEELj256ELj1ELj100EEvPKT0_PS4_,"axG",@progbits,_Z6kernelI2upN15benchmark_utils11custom_typeIffEELj256ELj1ELj100EEvPKT0_PS4_,comdat
.Lfunc_end44:
	.size	_Z6kernelI2upN15benchmark_utils11custom_typeIffEELj256ELj1ELj100EEvPKT0_PS4_, .Lfunc_end44-_Z6kernelI2upN15benchmark_utils11custom_typeIffEELj256ELj1ELj100EEvPKT0_PS4_
                                        ; -- End function
	.section	.AMDGPU.csdata,"",@progbits
; Kernel info:
; codeLenInByte = 160
; NumSgprs: 11
; NumVgprs: 6
; NumAgprs: 0
; TotalNumVgprs: 6
; ScratchSize: 0
; MemoryBound: 0
; FloatMode: 240
; IeeeMode: 1
; LDSByteSize: 2048 bytes/workgroup (compile time only)
; SGPRBlocks: 1
; VGPRBlocks: 0
; NumSGPRsForWavesPerEU: 11
; NumVGPRsForWavesPerEU: 6
; AccumOffset: 8
; Occupancy: 8
; WaveLimiterHint : 0
; COMPUTE_PGM_RSRC2:SCRATCH_EN: 0
; COMPUTE_PGM_RSRC2:USER_SGPR: 6
; COMPUTE_PGM_RSRC2:TRAP_HANDLER: 0
; COMPUTE_PGM_RSRC2:TGID_X_EN: 1
; COMPUTE_PGM_RSRC2:TGID_Y_EN: 0
; COMPUTE_PGM_RSRC2:TGID_Z_EN: 0
; COMPUTE_PGM_RSRC2:TIDIG_COMP_CNT: 0
; COMPUTE_PGM_RSRC3_GFX90A:ACCUM_OFFSET: 1
; COMPUTE_PGM_RSRC3_GFX90A:TG_SPLIT: 0
	.section	.text._Z6kernelI2upN15benchmark_utils11custom_typeIffEELj256ELj3ELj100EEvPKT0_PS4_,"axG",@progbits,_Z6kernelI2upN15benchmark_utils11custom_typeIffEELj256ELj3ELj100EEvPKT0_PS4_,comdat
	.protected	_Z6kernelI2upN15benchmark_utils11custom_typeIffEELj256ELj3ELj100EEvPKT0_PS4_ ; -- Begin function _Z6kernelI2upN15benchmark_utils11custom_typeIffEELj256ELj3ELj100EEvPKT0_PS4_
	.globl	_Z6kernelI2upN15benchmark_utils11custom_typeIffEELj256ELj3ELj100EEvPKT0_PS4_
	.p2align	8
	.type	_Z6kernelI2upN15benchmark_utils11custom_typeIffEELj256ELj3ELj100EEvPKT0_PS4_,@function
_Z6kernelI2upN15benchmark_utils11custom_typeIffEELj256ELj3ELj100EEvPKT0_PS4_: ; @_Z6kernelI2upN15benchmark_utils11custom_typeIffEELj256ELj3ELj100EEvPKT0_PS4_
; %bb.0:
	s_load_dwordx4 s[0:3], s[4:5], 0x0
	v_lshl_or_b32 v1, s6, 8, v0
	v_lshl_add_u32 v6, v1, 1, v1
	v_mov_b32_e32 v7, 0
	v_lshlrev_b64 v[2:3], 3, v[6:7]
	s_waitcnt lgkmcnt(0)
	v_mov_b32_e32 v1, s1
	v_add_co_u32_e32 v10, vcc, s0, v2
	v_add_u32_e32 v4, 1, v6
	v_mov_b32_e32 v5, v7
	v_addc_co_u32_e32 v11, vcc, v1, v3, vcc
	v_lshlrev_b64 v[4:5], 3, v[4:5]
	v_add_co_u32_e32 v16, vcc, s0, v4
	v_add_u32_e32 v6, 2, v6
	v_addc_co_u32_e32 v17, vcc, v1, v5, vcc
	v_lshlrev_b64 v[6:7], 3, v[6:7]
	v_add_co_u32_e32 v18, vcc, s0, v6
	v_addc_co_u32_e32 v19, vcc, v1, v7, vcc
	global_load_dwordx2 v[8:9], v[10:11], off
	global_load_dwordx2 v[12:13], v[16:17], off
	;; [unrolled: 1-line block ×3, first 2 shown]
	v_lshlrev_b32_e32 v16, 3, v0
	v_cmp_ne_u32_e32 vcc, 0, v0
	v_add_u32_e32 v17, -8, v16
	s_movk_i32 s4, 0x64
	s_waitcnt vmcnt(2)
	v_pk_mov_b32 v[10:11], v[8:9], v[8:9] op_sel:[0,1]
.LBB45_1:                               ; =>This Inner Loop Header: Depth=1
	s_waitcnt vmcnt(1)
	v_pk_mov_b32 v[0:1], v[12:13], v[12:13] op_sel:[0,1]
	s_waitcnt vmcnt(0)
	ds_write2_b32 v16, v14, v15 offset1:1
	s_waitcnt lgkmcnt(0)
	s_barrier
	s_and_saveexec_b64 s[0:1], vcc
	s_cbranch_execz .LBB45_3
; %bb.2:                                ;   in Loop: Header=BB45_1 Depth=1
	ds_read2_b32 v[10:11], v17 offset1:1
.LBB45_3:                               ;   in Loop: Header=BB45_1 Depth=1
	s_or_b64 exec, exec, s[0:1]
	s_add_i32 s4, s4, -1
	s_cmp_lg_u32 s4, 0
	s_waitcnt lgkmcnt(0)
	s_barrier
	s_cbranch_scc0 .LBB45_5
; %bb.4:                                ;   in Loop: Header=BB45_1 Depth=1
	v_pk_mov_b32 v[12:13], v[8:9], v[8:9] op_sel:[0,1]
	v_pk_mov_b32 v[8:9], v[10:11], v[10:11] op_sel:[0,1]
	;; [unrolled: 1-line block ×3, first 2 shown]
	s_branch .LBB45_1
.LBB45_5:
	v_mov_b32_e32 v12, s3
	v_add_co_u32_e32 v2, vcc, s2, v2
	v_addc_co_u32_e32 v3, vcc, v12, v3, vcc
	global_store_dwordx2 v[2:3], v[10:11], off
	v_mov_b32_e32 v3, s3
	v_add_co_u32_e32 v2, vcc, s2, v4
	v_addc_co_u32_e32 v3, vcc, v3, v5, vcc
	global_store_dwordx2 v[2:3], v[8:9], off
	;; [unrolled: 4-line block ×3, first 2 shown]
	s_endpgm
	.section	.rodata,"a",@progbits
	.p2align	6, 0x0
	.amdhsa_kernel _Z6kernelI2upN15benchmark_utils11custom_typeIffEELj256ELj3ELj100EEvPKT0_PS4_
		.amdhsa_group_segment_fixed_size 2048
		.amdhsa_private_segment_fixed_size 0
		.amdhsa_kernarg_size 16
		.amdhsa_user_sgpr_count 6
		.amdhsa_user_sgpr_private_segment_buffer 1
		.amdhsa_user_sgpr_dispatch_ptr 0
		.amdhsa_user_sgpr_queue_ptr 0
		.amdhsa_user_sgpr_kernarg_segment_ptr 1
		.amdhsa_user_sgpr_dispatch_id 0
		.amdhsa_user_sgpr_flat_scratch_init 0
		.amdhsa_user_sgpr_kernarg_preload_length 0
		.amdhsa_user_sgpr_kernarg_preload_offset 0
		.amdhsa_user_sgpr_private_segment_size 0
		.amdhsa_uses_dynamic_stack 0
		.amdhsa_system_sgpr_private_segment_wavefront_offset 0
		.amdhsa_system_sgpr_workgroup_id_x 1
		.amdhsa_system_sgpr_workgroup_id_y 0
		.amdhsa_system_sgpr_workgroup_id_z 0
		.amdhsa_system_sgpr_workgroup_info 0
		.amdhsa_system_vgpr_workitem_id 0
		.amdhsa_next_free_vgpr 20
		.amdhsa_next_free_sgpr 7
		.amdhsa_accum_offset 20
		.amdhsa_reserve_vcc 1
		.amdhsa_reserve_flat_scratch 0
		.amdhsa_float_round_mode_32 0
		.amdhsa_float_round_mode_16_64 0
		.amdhsa_float_denorm_mode_32 3
		.amdhsa_float_denorm_mode_16_64 3
		.amdhsa_dx10_clamp 1
		.amdhsa_ieee_mode 1
		.amdhsa_fp16_overflow 0
		.amdhsa_tg_split 0
		.amdhsa_exception_fp_ieee_invalid_op 0
		.amdhsa_exception_fp_denorm_src 0
		.amdhsa_exception_fp_ieee_div_zero 0
		.amdhsa_exception_fp_ieee_overflow 0
		.amdhsa_exception_fp_ieee_underflow 0
		.amdhsa_exception_fp_ieee_inexact 0
		.amdhsa_exception_int_div_zero 0
	.end_amdhsa_kernel
	.section	.text._Z6kernelI2upN15benchmark_utils11custom_typeIffEELj256ELj3ELj100EEvPKT0_PS4_,"axG",@progbits,_Z6kernelI2upN15benchmark_utils11custom_typeIffEELj256ELj3ELj100EEvPKT0_PS4_,comdat
.Lfunc_end45:
	.size	_Z6kernelI2upN15benchmark_utils11custom_typeIffEELj256ELj3ELj100EEvPKT0_PS4_, .Lfunc_end45-_Z6kernelI2upN15benchmark_utils11custom_typeIffEELj256ELj3ELj100EEvPKT0_PS4_
                                        ; -- End function
	.section	.AMDGPU.csdata,"",@progbits
; Kernel info:
; codeLenInByte = 312
; NumSgprs: 11
; NumVgprs: 20
; NumAgprs: 0
; TotalNumVgprs: 20
; ScratchSize: 0
; MemoryBound: 0
; FloatMode: 240
; IeeeMode: 1
; LDSByteSize: 2048 bytes/workgroup (compile time only)
; SGPRBlocks: 1
; VGPRBlocks: 2
; NumSGPRsForWavesPerEU: 11
; NumVGPRsForWavesPerEU: 20
; AccumOffset: 20
; Occupancy: 8
; WaveLimiterHint : 0
; COMPUTE_PGM_RSRC2:SCRATCH_EN: 0
; COMPUTE_PGM_RSRC2:USER_SGPR: 6
; COMPUTE_PGM_RSRC2:TRAP_HANDLER: 0
; COMPUTE_PGM_RSRC2:TGID_X_EN: 1
; COMPUTE_PGM_RSRC2:TGID_Y_EN: 0
; COMPUTE_PGM_RSRC2:TGID_Z_EN: 0
; COMPUTE_PGM_RSRC2:TIDIG_COMP_CNT: 0
; COMPUTE_PGM_RSRC3_GFX90A:ACCUM_OFFSET: 4
; COMPUTE_PGM_RSRC3_GFX90A:TG_SPLIT: 0
	.section	.text._Z6kernelI2upN15benchmark_utils11custom_typeIffEELj256ELj4ELj100EEvPKT0_PS4_,"axG",@progbits,_Z6kernelI2upN15benchmark_utils11custom_typeIffEELj256ELj4ELj100EEvPKT0_PS4_,comdat
	.protected	_Z6kernelI2upN15benchmark_utils11custom_typeIffEELj256ELj4ELj100EEvPKT0_PS4_ ; -- Begin function _Z6kernelI2upN15benchmark_utils11custom_typeIffEELj256ELj4ELj100EEvPKT0_PS4_
	.globl	_Z6kernelI2upN15benchmark_utils11custom_typeIffEELj256ELj4ELj100EEvPKT0_PS4_
	.p2align	8
	.type	_Z6kernelI2upN15benchmark_utils11custom_typeIffEELj256ELj4ELj100EEvPKT0_PS4_,@function
_Z6kernelI2upN15benchmark_utils11custom_typeIffEELj256ELj4ELj100EEvPKT0_PS4_: ; @_Z6kernelI2upN15benchmark_utils11custom_typeIffEELj256ELj4ELj100EEvPKT0_PS4_
; %bb.0:
	s_load_dwordx4 s[0:3], s[4:5], 0x0
	v_lshlrev_b32_e32 v1, 2, v0
	v_lshl_or_b32 v2, s6, 10, v1
	v_mov_b32_e32 v3, 0
	v_lshlrev_b64 v[10:11], 3, v[2:3]
	s_waitcnt lgkmcnt(0)
	v_mov_b32_e32 v1, s1
	v_add_co_u32_e32 v12, vcc, s0, v10
	v_addc_co_u32_e32 v13, vcc, v1, v11, vcc
	global_load_dwordx4 v[2:5], v[12:13], off offset:16
	global_load_dwordx4 v[6:9], v[12:13], off
	v_lshlrev_b32_e32 v12, 3, v0
	v_cmp_ne_u32_e32 vcc, 0, v0
	v_add_u32_e32 v13, -8, v12
	s_movk_i32 s4, 0x64
.LBB46_1:                               ; =>This Inner Loop Header: Depth=1
	s_waitcnt vmcnt(1)
	v_pk_mov_b32 v[0:1], v[2:3], v[2:3] op_sel:[0,1]
	s_waitcnt vmcnt(0)
	v_pk_mov_b32 v[2:3], v[8:9], v[8:9] op_sel:[0,1]
	v_pk_mov_b32 v[8:9], v[6:7], v[6:7] op_sel:[0,1]
	ds_write2_b32 v12, v4, v5 offset1:1
	s_waitcnt lgkmcnt(0)
	s_barrier
	s_and_saveexec_b64 s[0:1], vcc
	s_cbranch_execz .LBB46_3
; %bb.2:                                ;   in Loop: Header=BB46_1 Depth=1
	ds_read2_b32 v[6:7], v13 offset1:1
.LBB46_3:                               ;   in Loop: Header=BB46_1 Depth=1
	s_or_b64 exec, exec, s[0:1]
	s_add_i32 s4, s4, -1
	s_cmp_lg_u32 s4, 0
	s_waitcnt lgkmcnt(0)
	s_barrier
	s_cbranch_scc0 .LBB46_5
; %bb.4:                                ;   in Loop: Header=BB46_1 Depth=1
	v_pk_mov_b32 v[4:5], v[0:1], v[0:1] op_sel:[0,1]
	s_branch .LBB46_1
.LBB46_5:
	v_mov_b32_e32 v4, s3
	v_add_co_u32_e32 v10, vcc, s2, v10
	v_addc_co_u32_e32 v11, vcc, v4, v11, vcc
	v_mov_b32_e32 v4, v0
	v_mov_b32_e32 v5, v1
	global_store_dwordx4 v[10:11], v[6:9], off
	global_store_dwordx4 v[10:11], v[2:5], off offset:16
	s_endpgm
	.section	.rodata,"a",@progbits
	.p2align	6, 0x0
	.amdhsa_kernel _Z6kernelI2upN15benchmark_utils11custom_typeIffEELj256ELj4ELj100EEvPKT0_PS4_
		.amdhsa_group_segment_fixed_size 2048
		.amdhsa_private_segment_fixed_size 0
		.amdhsa_kernarg_size 16
		.amdhsa_user_sgpr_count 6
		.amdhsa_user_sgpr_private_segment_buffer 1
		.amdhsa_user_sgpr_dispatch_ptr 0
		.amdhsa_user_sgpr_queue_ptr 0
		.amdhsa_user_sgpr_kernarg_segment_ptr 1
		.amdhsa_user_sgpr_dispatch_id 0
		.amdhsa_user_sgpr_flat_scratch_init 0
		.amdhsa_user_sgpr_kernarg_preload_length 0
		.amdhsa_user_sgpr_kernarg_preload_offset 0
		.amdhsa_user_sgpr_private_segment_size 0
		.amdhsa_uses_dynamic_stack 0
		.amdhsa_system_sgpr_private_segment_wavefront_offset 0
		.amdhsa_system_sgpr_workgroup_id_x 1
		.amdhsa_system_sgpr_workgroup_id_y 0
		.amdhsa_system_sgpr_workgroup_id_z 0
		.amdhsa_system_sgpr_workgroup_info 0
		.amdhsa_system_vgpr_workitem_id 0
		.amdhsa_next_free_vgpr 14
		.amdhsa_next_free_sgpr 7
		.amdhsa_accum_offset 16
		.amdhsa_reserve_vcc 1
		.amdhsa_reserve_flat_scratch 0
		.amdhsa_float_round_mode_32 0
		.amdhsa_float_round_mode_16_64 0
		.amdhsa_float_denorm_mode_32 3
		.amdhsa_float_denorm_mode_16_64 3
		.amdhsa_dx10_clamp 1
		.amdhsa_ieee_mode 1
		.amdhsa_fp16_overflow 0
		.amdhsa_tg_split 0
		.amdhsa_exception_fp_ieee_invalid_op 0
		.amdhsa_exception_fp_denorm_src 0
		.amdhsa_exception_fp_ieee_div_zero 0
		.amdhsa_exception_fp_ieee_overflow 0
		.amdhsa_exception_fp_ieee_underflow 0
		.amdhsa_exception_fp_ieee_inexact 0
		.amdhsa_exception_int_div_zero 0
	.end_amdhsa_kernel
	.section	.text._Z6kernelI2upN15benchmark_utils11custom_typeIffEELj256ELj4ELj100EEvPKT0_PS4_,"axG",@progbits,_Z6kernelI2upN15benchmark_utils11custom_typeIffEELj256ELj4ELj100EEvPKT0_PS4_,comdat
.Lfunc_end46:
	.size	_Z6kernelI2upN15benchmark_utils11custom_typeIffEELj256ELj4ELj100EEvPKT0_PS4_, .Lfunc_end46-_Z6kernelI2upN15benchmark_utils11custom_typeIffEELj256ELj4ELj100EEvPKT0_PS4_
                                        ; -- End function
	.section	.AMDGPU.csdata,"",@progbits
; Kernel info:
; codeLenInByte = 220
; NumSgprs: 11
; NumVgprs: 14
; NumAgprs: 0
; TotalNumVgprs: 14
; ScratchSize: 0
; MemoryBound: 0
; FloatMode: 240
; IeeeMode: 1
; LDSByteSize: 2048 bytes/workgroup (compile time only)
; SGPRBlocks: 1
; VGPRBlocks: 1
; NumSGPRsForWavesPerEU: 11
; NumVGPRsForWavesPerEU: 14
; AccumOffset: 16
; Occupancy: 8
; WaveLimiterHint : 0
; COMPUTE_PGM_RSRC2:SCRATCH_EN: 0
; COMPUTE_PGM_RSRC2:USER_SGPR: 6
; COMPUTE_PGM_RSRC2:TRAP_HANDLER: 0
; COMPUTE_PGM_RSRC2:TGID_X_EN: 1
; COMPUTE_PGM_RSRC2:TGID_Y_EN: 0
; COMPUTE_PGM_RSRC2:TGID_Z_EN: 0
; COMPUTE_PGM_RSRC2:TIDIG_COMP_CNT: 0
; COMPUTE_PGM_RSRC3_GFX90A:ACCUM_OFFSET: 3
; COMPUTE_PGM_RSRC3_GFX90A:TG_SPLIT: 0
	.section	.text._Z6kernelI2upN15benchmark_utils11custom_typeIffEELj256ELj8ELj100EEvPKT0_PS4_,"axG",@progbits,_Z6kernelI2upN15benchmark_utils11custom_typeIffEELj256ELj8ELj100EEvPKT0_PS4_,comdat
	.protected	_Z6kernelI2upN15benchmark_utils11custom_typeIffEELj256ELj8ELj100EEvPKT0_PS4_ ; -- Begin function _Z6kernelI2upN15benchmark_utils11custom_typeIffEELj256ELj8ELj100EEvPKT0_PS4_
	.globl	_Z6kernelI2upN15benchmark_utils11custom_typeIffEELj256ELj8ELj100EEvPKT0_PS4_
	.p2align	8
	.type	_Z6kernelI2upN15benchmark_utils11custom_typeIffEELj256ELj8ELj100EEvPKT0_PS4_,@function
_Z6kernelI2upN15benchmark_utils11custom_typeIffEELj256ELj8ELj100EEvPKT0_PS4_: ; @_Z6kernelI2upN15benchmark_utils11custom_typeIffEELj256ELj8ELj100EEvPKT0_PS4_
; %bb.0:
	s_load_dwordx4 s[0:3], s[4:5], 0x0
	v_lshlrev_b32_e32 v20, 3, v0
	v_lshl_or_b32 v2, s6, 11, v20
	v_mov_b32_e32 v3, 0
	v_lshlrev_b64 v[18:19], 3, v[2:3]
	s_waitcnt lgkmcnt(0)
	v_mov_b32_e32 v1, s1
	v_add_co_u32_e32 v22, vcc, s0, v18
	v_addc_co_u32_e32 v23, vcc, v1, v19, vcc
	global_load_dwordx4 v[2:5], v[22:23], off offset:48
	global_load_dwordx4 v[6:9], v[22:23], off offset:32
	;; [unrolled: 1-line block ×3, first 2 shown]
	global_load_dwordx4 v[14:17], v[22:23], off
	v_cmp_ne_u32_e32 vcc, 0, v0
	v_add_u32_e32 v21, -8, v20
	s_movk_i32 s4, 0x64
.LBB47_1:                               ; =>This Inner Loop Header: Depth=1
	s_waitcnt vmcnt(3)
	v_pk_mov_b32 v[0:1], v[2:3], v[2:3] op_sel:[0,1]
	s_waitcnt vmcnt(2)
	v_pk_mov_b32 v[2:3], v[8:9], v[8:9] op_sel:[0,1]
	v_pk_mov_b32 v[8:9], v[6:7], v[6:7] op_sel:[0,1]
	s_waitcnt vmcnt(1)
	v_pk_mov_b32 v[6:7], v[12:13], v[12:13] op_sel:[0,1]
	;; [unrolled: 3-line block ×3, first 2 shown]
	v_pk_mov_b32 v[16:17], v[14:15], v[14:15] op_sel:[0,1]
	ds_write2_b32 v20, v4, v5 offset1:1
	s_waitcnt lgkmcnt(0)
	s_barrier
	s_and_saveexec_b64 s[0:1], vcc
	s_cbranch_execz .LBB47_3
; %bb.2:                                ;   in Loop: Header=BB47_1 Depth=1
	ds_read2_b32 v[14:15], v21 offset1:1
.LBB47_3:                               ;   in Loop: Header=BB47_1 Depth=1
	s_or_b64 exec, exec, s[0:1]
	s_add_i32 s4, s4, -1
	s_cmp_lg_u32 s4, 0
	s_waitcnt lgkmcnt(0)
	s_barrier
	s_cbranch_scc0 .LBB47_5
; %bb.4:                                ;   in Loop: Header=BB47_1 Depth=1
	v_pk_mov_b32 v[4:5], v[0:1], v[0:1] op_sel:[0,1]
	s_branch .LBB47_1
.LBB47_5:
	v_mov_b32_e32 v4, s3
	v_add_co_u32_e32 v18, vcc, s2, v18
	v_addc_co_u32_e32 v19, vcc, v4, v19, vcc
	v_mov_b32_e32 v4, v0
	v_mov_b32_e32 v5, v1
	global_store_dwordx4 v[18:19], v[14:17], off
	global_store_dwordx4 v[18:19], v[10:13], off offset:16
	global_store_dwordx4 v[18:19], v[6:9], off offset:32
	;; [unrolled: 1-line block ×3, first 2 shown]
	s_endpgm
	.section	.rodata,"a",@progbits
	.p2align	6, 0x0
	.amdhsa_kernel _Z6kernelI2upN15benchmark_utils11custom_typeIffEELj256ELj8ELj100EEvPKT0_PS4_
		.amdhsa_group_segment_fixed_size 2048
		.amdhsa_private_segment_fixed_size 0
		.amdhsa_kernarg_size 16
		.amdhsa_user_sgpr_count 6
		.amdhsa_user_sgpr_private_segment_buffer 1
		.amdhsa_user_sgpr_dispatch_ptr 0
		.amdhsa_user_sgpr_queue_ptr 0
		.amdhsa_user_sgpr_kernarg_segment_ptr 1
		.amdhsa_user_sgpr_dispatch_id 0
		.amdhsa_user_sgpr_flat_scratch_init 0
		.amdhsa_user_sgpr_kernarg_preload_length 0
		.amdhsa_user_sgpr_kernarg_preload_offset 0
		.amdhsa_user_sgpr_private_segment_size 0
		.amdhsa_uses_dynamic_stack 0
		.amdhsa_system_sgpr_private_segment_wavefront_offset 0
		.amdhsa_system_sgpr_workgroup_id_x 1
		.amdhsa_system_sgpr_workgroup_id_y 0
		.amdhsa_system_sgpr_workgroup_id_z 0
		.amdhsa_system_sgpr_workgroup_info 0
		.amdhsa_system_vgpr_workitem_id 0
		.amdhsa_next_free_vgpr 24
		.amdhsa_next_free_sgpr 7
		.amdhsa_accum_offset 24
		.amdhsa_reserve_vcc 1
		.amdhsa_reserve_flat_scratch 0
		.amdhsa_float_round_mode_32 0
		.amdhsa_float_round_mode_16_64 0
		.amdhsa_float_denorm_mode_32 3
		.amdhsa_float_denorm_mode_16_64 3
		.amdhsa_dx10_clamp 1
		.amdhsa_ieee_mode 1
		.amdhsa_fp16_overflow 0
		.amdhsa_tg_split 0
		.amdhsa_exception_fp_ieee_invalid_op 0
		.amdhsa_exception_fp_denorm_src 0
		.amdhsa_exception_fp_ieee_div_zero 0
		.amdhsa_exception_fp_ieee_overflow 0
		.amdhsa_exception_fp_ieee_underflow 0
		.amdhsa_exception_fp_ieee_inexact 0
		.amdhsa_exception_int_div_zero 0
	.end_amdhsa_kernel
	.section	.text._Z6kernelI2upN15benchmark_utils11custom_typeIffEELj256ELj8ELj100EEvPKT0_PS4_,"axG",@progbits,_Z6kernelI2upN15benchmark_utils11custom_typeIffEELj256ELj8ELj100EEvPKT0_PS4_,comdat
.Lfunc_end47:
	.size	_Z6kernelI2upN15benchmark_utils11custom_typeIffEELj256ELj8ELj100EEvPKT0_PS4_, .Lfunc_end47-_Z6kernelI2upN15benchmark_utils11custom_typeIffEELj256ELj8ELj100EEvPKT0_PS4_
                                        ; -- End function
	.section	.AMDGPU.csdata,"",@progbits
; Kernel info:
; codeLenInByte = 288
; NumSgprs: 11
; NumVgprs: 24
; NumAgprs: 0
; TotalNumVgprs: 24
; ScratchSize: 0
; MemoryBound: 1
; FloatMode: 240
; IeeeMode: 1
; LDSByteSize: 2048 bytes/workgroup (compile time only)
; SGPRBlocks: 1
; VGPRBlocks: 2
; NumSGPRsForWavesPerEU: 11
; NumVGPRsForWavesPerEU: 24
; AccumOffset: 24
; Occupancy: 8
; WaveLimiterHint : 0
; COMPUTE_PGM_RSRC2:SCRATCH_EN: 0
; COMPUTE_PGM_RSRC2:USER_SGPR: 6
; COMPUTE_PGM_RSRC2:TRAP_HANDLER: 0
; COMPUTE_PGM_RSRC2:TGID_X_EN: 1
; COMPUTE_PGM_RSRC2:TGID_Y_EN: 0
; COMPUTE_PGM_RSRC2:TGID_Z_EN: 0
; COMPUTE_PGM_RSRC2:TIDIG_COMP_CNT: 0
; COMPUTE_PGM_RSRC3_GFX90A:ACCUM_OFFSET: 5
; COMPUTE_PGM_RSRC3_GFX90A:TG_SPLIT: 0
	.section	.text._Z6kernelI2upN15benchmark_utils11custom_typeIffEELj256ELj16ELj100EEvPKT0_PS4_,"axG",@progbits,_Z6kernelI2upN15benchmark_utils11custom_typeIffEELj256ELj16ELj100EEvPKT0_PS4_,comdat
	.protected	_Z6kernelI2upN15benchmark_utils11custom_typeIffEELj256ELj16ELj100EEvPKT0_PS4_ ; -- Begin function _Z6kernelI2upN15benchmark_utils11custom_typeIffEELj256ELj16ELj100EEvPKT0_PS4_
	.globl	_Z6kernelI2upN15benchmark_utils11custom_typeIffEELj256ELj16ELj100EEvPKT0_PS4_
	.p2align	8
	.type	_Z6kernelI2upN15benchmark_utils11custom_typeIffEELj256ELj16ELj100EEvPKT0_PS4_,@function
_Z6kernelI2upN15benchmark_utils11custom_typeIffEELj256ELj16ELj100EEvPKT0_PS4_: ; @_Z6kernelI2upN15benchmark_utils11custom_typeIffEELj256ELj16ELj100EEvPKT0_PS4_
; %bb.0:
	s_load_dwordx4 s[0:3], s[4:5], 0x0
	v_lshlrev_b32_e32 v1, 4, v0
	v_lshl_or_b32 v2, s6, 12, v1
	v_mov_b32_e32 v3, 0
	v_lshlrev_b64 v[34:35], 3, v[2:3]
	s_waitcnt lgkmcnt(0)
	v_mov_b32_e32 v1, s1
	v_add_co_u32_e32 v36, vcc, s0, v34
	v_addc_co_u32_e32 v37, vcc, v1, v35, vcc
	global_load_dwordx4 v[2:5], v[36:37], off offset:48
	global_load_dwordx4 v[10:13], v[36:37], off offset:32
	;; [unrolled: 1-line block ×3, first 2 shown]
	global_load_dwordx4 v[26:29], v[36:37], off
	global_load_dwordx4 v[6:9], v[36:37], off offset:112
	global_load_dwordx4 v[14:17], v[36:37], off offset:96
	;; [unrolled: 1-line block ×4, first 2 shown]
	v_lshlrev_b32_e32 v36, 3, v0
	v_cmp_ne_u32_e32 vcc, 0, v0
	v_add_u32_e32 v37, -8, v36
	s_movk_i32 s4, 0x64
.LBB48_1:                               ; =>This Inner Loop Header: Depth=1
	s_waitcnt vmcnt(3)
	v_pk_mov_b32 v[0:1], v[6:7], v[6:7] op_sel:[0,1]
	s_waitcnt vmcnt(2)
	v_pk_mov_b32 v[6:7], v[16:17], v[16:17] op_sel:[0,1]
	v_pk_mov_b32 v[16:17], v[14:15], v[14:15] op_sel:[0,1]
	s_waitcnt vmcnt(1)
	v_pk_mov_b32 v[14:15], v[24:25], v[24:25] op_sel:[0,1]
	;; [unrolled: 3-line block ×3, first 2 shown]
	v_pk_mov_b32 v[32:33], v[30:31], v[30:31] op_sel:[0,1]
	v_pk_mov_b32 v[30:31], v[4:5], v[4:5] op_sel:[0,1]
	;; [unrolled: 1-line block ×9, first 2 shown]
	ds_write2_b32 v36, v8, v9 offset1:1
	s_waitcnt lgkmcnt(0)
	s_barrier
	s_and_saveexec_b64 s[0:1], vcc
	s_cbranch_execz .LBB48_3
; %bb.2:                                ;   in Loop: Header=BB48_1 Depth=1
	ds_read2_b32 v[26:27], v37 offset1:1
.LBB48_3:                               ;   in Loop: Header=BB48_1 Depth=1
	s_or_b64 exec, exec, s[0:1]
	s_add_i32 s4, s4, -1
	s_cmp_lg_u32 s4, 0
	s_waitcnt lgkmcnt(0)
	s_barrier
	s_cbranch_scc0 .LBB48_5
; %bb.4:                                ;   in Loop: Header=BB48_1 Depth=1
	v_pk_mov_b32 v[8:9], v[0:1], v[0:1] op_sel:[0,1]
	s_branch .LBB48_1
.LBB48_5:
	v_mov_b32_e32 v8, s3
	v_add_co_u32_e32 v34, vcc, s2, v34
	v_addc_co_u32_e32 v35, vcc, v8, v35, vcc
	v_mov_b32_e32 v8, v0
	v_mov_b32_e32 v9, v1
	global_store_dwordx4 v[34:35], v[26:29], off
	global_store_dwordx4 v[34:35], v[18:21], off offset:16
	global_store_dwordx4 v[34:35], v[10:13], off offset:32
	;; [unrolled: 1-line block ×7, first 2 shown]
	s_endpgm
	.section	.rodata,"a",@progbits
	.p2align	6, 0x0
	.amdhsa_kernel _Z6kernelI2upN15benchmark_utils11custom_typeIffEELj256ELj16ELj100EEvPKT0_PS4_
		.amdhsa_group_segment_fixed_size 2048
		.amdhsa_private_segment_fixed_size 0
		.amdhsa_kernarg_size 16
		.amdhsa_user_sgpr_count 6
		.amdhsa_user_sgpr_private_segment_buffer 1
		.amdhsa_user_sgpr_dispatch_ptr 0
		.amdhsa_user_sgpr_queue_ptr 0
		.amdhsa_user_sgpr_kernarg_segment_ptr 1
		.amdhsa_user_sgpr_dispatch_id 0
		.amdhsa_user_sgpr_flat_scratch_init 0
		.amdhsa_user_sgpr_kernarg_preload_length 0
		.amdhsa_user_sgpr_kernarg_preload_offset 0
		.amdhsa_user_sgpr_private_segment_size 0
		.amdhsa_uses_dynamic_stack 0
		.amdhsa_system_sgpr_private_segment_wavefront_offset 0
		.amdhsa_system_sgpr_workgroup_id_x 1
		.amdhsa_system_sgpr_workgroup_id_y 0
		.amdhsa_system_sgpr_workgroup_id_z 0
		.amdhsa_system_sgpr_workgroup_info 0
		.amdhsa_system_vgpr_workitem_id 0
		.amdhsa_next_free_vgpr 38
		.amdhsa_next_free_sgpr 7
		.amdhsa_accum_offset 40
		.amdhsa_reserve_vcc 1
		.amdhsa_reserve_flat_scratch 0
		.amdhsa_float_round_mode_32 0
		.amdhsa_float_round_mode_16_64 0
		.amdhsa_float_denorm_mode_32 3
		.amdhsa_float_denorm_mode_16_64 3
		.amdhsa_dx10_clamp 1
		.amdhsa_ieee_mode 1
		.amdhsa_fp16_overflow 0
		.amdhsa_tg_split 0
		.amdhsa_exception_fp_ieee_invalid_op 0
		.amdhsa_exception_fp_denorm_src 0
		.amdhsa_exception_fp_ieee_div_zero 0
		.amdhsa_exception_fp_ieee_overflow 0
		.amdhsa_exception_fp_ieee_underflow 0
		.amdhsa_exception_fp_ieee_inexact 0
		.amdhsa_exception_int_div_zero 0
	.end_amdhsa_kernel
	.section	.text._Z6kernelI2upN15benchmark_utils11custom_typeIffEELj256ELj16ELj100EEvPKT0_PS4_,"axG",@progbits,_Z6kernelI2upN15benchmark_utils11custom_typeIffEELj256ELj16ELj100EEvPKT0_PS4_,comdat
.Lfunc_end48:
	.size	_Z6kernelI2upN15benchmark_utils11custom_typeIffEELj256ELj16ELj100EEvPKT0_PS4_, .Lfunc_end48-_Z6kernelI2upN15benchmark_utils11custom_typeIffEELj256ELj16ELj100EEvPKT0_PS4_
                                        ; -- End function
	.section	.AMDGPU.csdata,"",@progbits
; Kernel info:
; codeLenInByte = 420
; NumSgprs: 11
; NumVgprs: 38
; NumAgprs: 0
; TotalNumVgprs: 38
; ScratchSize: 0
; MemoryBound: 1
; FloatMode: 240
; IeeeMode: 1
; LDSByteSize: 2048 bytes/workgroup (compile time only)
; SGPRBlocks: 1
; VGPRBlocks: 4
; NumSGPRsForWavesPerEU: 11
; NumVGPRsForWavesPerEU: 38
; AccumOffset: 40
; Occupancy: 8
; WaveLimiterHint : 0
; COMPUTE_PGM_RSRC2:SCRATCH_EN: 0
; COMPUTE_PGM_RSRC2:USER_SGPR: 6
; COMPUTE_PGM_RSRC2:TRAP_HANDLER: 0
; COMPUTE_PGM_RSRC2:TGID_X_EN: 1
; COMPUTE_PGM_RSRC2:TGID_Y_EN: 0
; COMPUTE_PGM_RSRC2:TGID_Z_EN: 0
; COMPUTE_PGM_RSRC2:TIDIG_COMP_CNT: 0
; COMPUTE_PGM_RSRC3_GFX90A:ACCUM_OFFSET: 9
; COMPUTE_PGM_RSRC3_GFX90A:TG_SPLIT: 0
	.section	.text._Z6kernelI2upN15benchmark_utils11custom_typeIffEELj256ELj32ELj100EEvPKT0_PS4_,"axG",@progbits,_Z6kernelI2upN15benchmark_utils11custom_typeIffEELj256ELj32ELj100EEvPKT0_PS4_,comdat
	.protected	_Z6kernelI2upN15benchmark_utils11custom_typeIffEELj256ELj32ELj100EEvPKT0_PS4_ ; -- Begin function _Z6kernelI2upN15benchmark_utils11custom_typeIffEELj256ELj32ELj100EEvPKT0_PS4_
	.globl	_Z6kernelI2upN15benchmark_utils11custom_typeIffEELj256ELj32ELj100EEvPKT0_PS4_
	.p2align	8
	.type	_Z6kernelI2upN15benchmark_utils11custom_typeIffEELj256ELj32ELj100EEvPKT0_PS4_,@function
_Z6kernelI2upN15benchmark_utils11custom_typeIffEELj256ELj32ELj100EEvPKT0_PS4_: ; @_Z6kernelI2upN15benchmark_utils11custom_typeIffEELj256ELj32ELj100EEvPKT0_PS4_
; %bb.0:
	s_load_dwordx4 s[0:3], s[4:5], 0x0
	v_lshlrev_b32_e32 v1, 5, v0
	v_lshl_or_b32 v2, s6, 13, v1
	v_mov_b32_e32 v3, 0
	v_lshlrev_b64 v[66:67], 3, v[2:3]
	s_waitcnt lgkmcnt(0)
	v_mov_b32_e32 v1, s1
	v_add_co_u32_e32 v62, vcc, s0, v66
	v_addc_co_u32_e32 v63, vcc, v1, v67, vcc
	global_load_dwordx4 v[2:5], v[62:63], off offset:48
	global_load_dwordx4 v[10:13], v[62:63], off offset:32
	;; [unrolled: 1-line block ×3, first 2 shown]
	global_load_dwordx4 v[42:45], v[62:63], off
	global_load_dwordx4 v[6:9], v[62:63], off offset:112
	global_load_dwordx4 v[18:21], v[62:63], off offset:96
	;; [unrolled: 1-line block ×11, first 2 shown]
	s_nop 0
	global_load_dwordx4 v[62:65], v[62:63], off offset:192
	v_lshlrev_b32_e32 v68, 3, v0
	v_cmp_ne_u32_e32 vcc, 0, v0
	v_add_u32_e32 v69, -8, v68
	s_movk_i32 s4, 0x64
.LBB49_1:                               ; =>This Inner Loop Header: Depth=1
	s_waitcnt vmcnt(3)
	v_pk_mov_b32 v[0:1], v[22:23], v[22:23] op_sel:[0,1]
	s_waitcnt vmcnt(2)
	v_pk_mov_b32 v[22:23], v[40:41], v[40:41] op_sel:[0,1]
	v_pk_mov_b32 v[40:41], v[38:39], v[38:39] op_sel:[0,1]
	s_waitcnt vmcnt(1)
	v_pk_mov_b32 v[38:39], v[56:57], v[56:57] op_sel:[0,1]
	;; [unrolled: 3-line block ×3, first 2 shown]
	v_pk_mov_b32 v[64:65], v[62:63], v[62:63] op_sel:[0,1]
	v_pk_mov_b32 v[62:63], v[16:17], v[16:17] op_sel:[0,1]
	;; [unrolled: 1-line block ×25, first 2 shown]
	ds_write2_b32 v68, v24, v25 offset1:1
	s_waitcnt lgkmcnt(0)
	s_barrier
	s_and_saveexec_b64 s[0:1], vcc
	s_cbranch_execz .LBB49_3
; %bb.2:                                ;   in Loop: Header=BB49_1 Depth=1
	ds_read2_b32 v[42:43], v69 offset1:1
.LBB49_3:                               ;   in Loop: Header=BB49_1 Depth=1
	s_or_b64 exec, exec, s[0:1]
	s_add_i32 s4, s4, -1
	s_cmp_lg_u32 s4, 0
	s_waitcnt lgkmcnt(0)
	s_barrier
	s_cbranch_scc0 .LBB49_5
; %bb.4:                                ;   in Loop: Header=BB49_1 Depth=1
	v_pk_mov_b32 v[24:25], v[0:1], v[0:1] op_sel:[0,1]
	s_branch .LBB49_1
.LBB49_5:
	v_mov_b32_e32 v24, s3
	v_add_co_u32_e32 v66, vcc, s2, v66
	v_addc_co_u32_e32 v67, vcc, v24, v67, vcc
	v_mov_b32_e32 v24, v0
	v_mov_b32_e32 v25, v1
	global_store_dwordx4 v[66:67], v[42:45], off
	global_store_dwordx4 v[66:67], v[26:29], off offset:16
	global_store_dwordx4 v[66:67], v[10:13], off offset:32
	;; [unrolled: 1-line block ×15, first 2 shown]
	s_endpgm
	.section	.rodata,"a",@progbits
	.p2align	6, 0x0
	.amdhsa_kernel _Z6kernelI2upN15benchmark_utils11custom_typeIffEELj256ELj32ELj100EEvPKT0_PS4_
		.amdhsa_group_segment_fixed_size 2048
		.amdhsa_private_segment_fixed_size 0
		.amdhsa_kernarg_size 16
		.amdhsa_user_sgpr_count 6
		.amdhsa_user_sgpr_private_segment_buffer 1
		.amdhsa_user_sgpr_dispatch_ptr 0
		.amdhsa_user_sgpr_queue_ptr 0
		.amdhsa_user_sgpr_kernarg_segment_ptr 1
		.amdhsa_user_sgpr_dispatch_id 0
		.amdhsa_user_sgpr_flat_scratch_init 0
		.amdhsa_user_sgpr_kernarg_preload_length 0
		.amdhsa_user_sgpr_kernarg_preload_offset 0
		.amdhsa_user_sgpr_private_segment_size 0
		.amdhsa_uses_dynamic_stack 0
		.amdhsa_system_sgpr_private_segment_wavefront_offset 0
		.amdhsa_system_sgpr_workgroup_id_x 1
		.amdhsa_system_sgpr_workgroup_id_y 0
		.amdhsa_system_sgpr_workgroup_id_z 0
		.amdhsa_system_sgpr_workgroup_info 0
		.amdhsa_system_vgpr_workitem_id 0
		.amdhsa_next_free_vgpr 70
		.amdhsa_next_free_sgpr 7
		.amdhsa_accum_offset 72
		.amdhsa_reserve_vcc 1
		.amdhsa_reserve_flat_scratch 0
		.amdhsa_float_round_mode_32 0
		.amdhsa_float_round_mode_16_64 0
		.amdhsa_float_denorm_mode_32 3
		.amdhsa_float_denorm_mode_16_64 3
		.amdhsa_dx10_clamp 1
		.amdhsa_ieee_mode 1
		.amdhsa_fp16_overflow 0
		.amdhsa_tg_split 0
		.amdhsa_exception_fp_ieee_invalid_op 0
		.amdhsa_exception_fp_denorm_src 0
		.amdhsa_exception_fp_ieee_div_zero 0
		.amdhsa_exception_fp_ieee_overflow 0
		.amdhsa_exception_fp_ieee_underflow 0
		.amdhsa_exception_fp_ieee_inexact 0
		.amdhsa_exception_int_div_zero 0
	.end_amdhsa_kernel
	.section	.text._Z6kernelI2upN15benchmark_utils11custom_typeIffEELj256ELj32ELj100EEvPKT0_PS4_,"axG",@progbits,_Z6kernelI2upN15benchmark_utils11custom_typeIffEELj256ELj32ELj100EEvPKT0_PS4_,comdat
.Lfunc_end49:
	.size	_Z6kernelI2upN15benchmark_utils11custom_typeIffEELj256ELj32ELj100EEvPKT0_PS4_, .Lfunc_end49-_Z6kernelI2upN15benchmark_utils11custom_typeIffEELj256ELj32ELj100EEvPKT0_PS4_
                                        ; -- End function
	.section	.AMDGPU.csdata,"",@progbits
; Kernel info:
; codeLenInByte = 680
; NumSgprs: 11
; NumVgprs: 70
; NumAgprs: 0
; TotalNumVgprs: 70
; ScratchSize: 0
; MemoryBound: 1
; FloatMode: 240
; IeeeMode: 1
; LDSByteSize: 2048 bytes/workgroup (compile time only)
; SGPRBlocks: 1
; VGPRBlocks: 8
; NumSGPRsForWavesPerEU: 11
; NumVGPRsForWavesPerEU: 70
; AccumOffset: 72
; Occupancy: 7
; WaveLimiterHint : 0
; COMPUTE_PGM_RSRC2:SCRATCH_EN: 0
; COMPUTE_PGM_RSRC2:USER_SGPR: 6
; COMPUTE_PGM_RSRC2:TRAP_HANDLER: 0
; COMPUTE_PGM_RSRC2:TGID_X_EN: 1
; COMPUTE_PGM_RSRC2:TGID_Y_EN: 0
; COMPUTE_PGM_RSRC2:TGID_Z_EN: 0
; COMPUTE_PGM_RSRC2:TIDIG_COMP_CNT: 0
; COMPUTE_PGM_RSRC3_GFX90A:ACCUM_OFFSET: 17
; COMPUTE_PGM_RSRC3_GFX90A:TG_SPLIT: 0
	.section	.text._Z6kernelI2upN15benchmark_utils11custom_typeIddEELj256ELj1ELj100EEvPKT0_PS4_,"axG",@progbits,_Z6kernelI2upN15benchmark_utils11custom_typeIddEELj256ELj1ELj100EEvPKT0_PS4_,comdat
	.protected	_Z6kernelI2upN15benchmark_utils11custom_typeIddEELj256ELj1ELj100EEvPKT0_PS4_ ; -- Begin function _Z6kernelI2upN15benchmark_utils11custom_typeIddEELj256ELj1ELj100EEvPKT0_PS4_
	.globl	_Z6kernelI2upN15benchmark_utils11custom_typeIddEELj256ELj1ELj100EEvPKT0_PS4_
	.p2align	8
	.type	_Z6kernelI2upN15benchmark_utils11custom_typeIddEELj256ELj1ELj100EEvPKT0_PS4_,@function
_Z6kernelI2upN15benchmark_utils11custom_typeIddEELj256ELj1ELj100EEvPKT0_PS4_: ; @_Z6kernelI2upN15benchmark_utils11custom_typeIddEELj256ELj1ELj100EEvPKT0_PS4_
; %bb.0:
	s_load_dwordx4 s[0:3], s[4:5], 0x0
	v_lshl_or_b32 v2, s6, 8, v0
	v_mov_b32_e32 v3, 0
	v_lshlrev_b64 v[6:7], 4, v[2:3]
	s_movk_i32 s4, 0x64
	s_waitcnt lgkmcnt(0)
	v_mov_b32_e32 v1, s1
	v_add_co_u32_e32 v2, vcc, s0, v6
	v_addc_co_u32_e32 v3, vcc, v1, v7, vcc
	global_load_dwordx4 v[2:5], v[2:3], off
	v_lshlrev_b32_e32 v1, 4, v0
	v_cmp_ne_u32_e32 vcc, 0, v0
	v_add_u32_e32 v0, -16, v1
	s_branch .LBB50_2
.LBB50_1:                               ;   in Loop: Header=BB50_2 Depth=1
	s_or_b64 exec, exec, s[0:1]
	s_add_i32 s4, s4, -1
	s_cmp_lg_u32 s4, 0
	s_waitcnt lgkmcnt(0)
	s_barrier
	s_cbranch_scc0 .LBB50_4
.LBB50_2:                               ; =>This Inner Loop Header: Depth=1
	s_waitcnt vmcnt(0)
	ds_write2_b64 v1, v[2:3], v[4:5] offset1:1
	s_waitcnt lgkmcnt(0)
	s_barrier
	s_and_saveexec_b64 s[0:1], vcc
	s_cbranch_execz .LBB50_1
; %bb.3:                                ;   in Loop: Header=BB50_2 Depth=1
	ds_read2_b64 v[2:5], v0 offset1:1
	s_branch .LBB50_1
.LBB50_4:
	v_mov_b32_e32 v1, s3
	v_add_co_u32_e32 v0, vcc, s2, v6
	v_addc_co_u32_e32 v1, vcc, v1, v7, vcc
	global_store_dwordx4 v[0:1], v[2:5], off
	s_endpgm
	.section	.rodata,"a",@progbits
	.p2align	6, 0x0
	.amdhsa_kernel _Z6kernelI2upN15benchmark_utils11custom_typeIddEELj256ELj1ELj100EEvPKT0_PS4_
		.amdhsa_group_segment_fixed_size 4096
		.amdhsa_private_segment_fixed_size 0
		.amdhsa_kernarg_size 16
		.amdhsa_user_sgpr_count 6
		.amdhsa_user_sgpr_private_segment_buffer 1
		.amdhsa_user_sgpr_dispatch_ptr 0
		.amdhsa_user_sgpr_queue_ptr 0
		.amdhsa_user_sgpr_kernarg_segment_ptr 1
		.amdhsa_user_sgpr_dispatch_id 0
		.amdhsa_user_sgpr_flat_scratch_init 0
		.amdhsa_user_sgpr_kernarg_preload_length 0
		.amdhsa_user_sgpr_kernarg_preload_offset 0
		.amdhsa_user_sgpr_private_segment_size 0
		.amdhsa_uses_dynamic_stack 0
		.amdhsa_system_sgpr_private_segment_wavefront_offset 0
		.amdhsa_system_sgpr_workgroup_id_x 1
		.amdhsa_system_sgpr_workgroup_id_y 0
		.amdhsa_system_sgpr_workgroup_id_z 0
		.amdhsa_system_sgpr_workgroup_info 0
		.amdhsa_system_vgpr_workitem_id 0
		.amdhsa_next_free_vgpr 8
		.amdhsa_next_free_sgpr 7
		.amdhsa_accum_offset 8
		.amdhsa_reserve_vcc 1
		.amdhsa_reserve_flat_scratch 0
		.amdhsa_float_round_mode_32 0
		.amdhsa_float_round_mode_16_64 0
		.amdhsa_float_denorm_mode_32 3
		.amdhsa_float_denorm_mode_16_64 3
		.amdhsa_dx10_clamp 1
		.amdhsa_ieee_mode 1
		.amdhsa_fp16_overflow 0
		.amdhsa_tg_split 0
		.amdhsa_exception_fp_ieee_invalid_op 0
		.amdhsa_exception_fp_denorm_src 0
		.amdhsa_exception_fp_ieee_div_zero 0
		.amdhsa_exception_fp_ieee_overflow 0
		.amdhsa_exception_fp_ieee_underflow 0
		.amdhsa_exception_fp_ieee_inexact 0
		.amdhsa_exception_int_div_zero 0
	.end_amdhsa_kernel
	.section	.text._Z6kernelI2upN15benchmark_utils11custom_typeIddEELj256ELj1ELj100EEvPKT0_PS4_,"axG",@progbits,_Z6kernelI2upN15benchmark_utils11custom_typeIddEELj256ELj1ELj100EEvPKT0_PS4_,comdat
.Lfunc_end50:
	.size	_Z6kernelI2upN15benchmark_utils11custom_typeIddEELj256ELj1ELj100EEvPKT0_PS4_, .Lfunc_end50-_Z6kernelI2upN15benchmark_utils11custom_typeIddEELj256ELj1ELj100EEvPKT0_PS4_
                                        ; -- End function
	.section	.AMDGPU.csdata,"",@progbits
; Kernel info:
; codeLenInByte = 160
; NumSgprs: 11
; NumVgprs: 8
; NumAgprs: 0
; TotalNumVgprs: 8
; ScratchSize: 0
; MemoryBound: 0
; FloatMode: 240
; IeeeMode: 1
; LDSByteSize: 4096 bytes/workgroup (compile time only)
; SGPRBlocks: 1
; VGPRBlocks: 0
; NumSGPRsForWavesPerEU: 11
; NumVGPRsForWavesPerEU: 8
; AccumOffset: 8
; Occupancy: 8
; WaveLimiterHint : 0
; COMPUTE_PGM_RSRC2:SCRATCH_EN: 0
; COMPUTE_PGM_RSRC2:USER_SGPR: 6
; COMPUTE_PGM_RSRC2:TRAP_HANDLER: 0
; COMPUTE_PGM_RSRC2:TGID_X_EN: 1
; COMPUTE_PGM_RSRC2:TGID_Y_EN: 0
; COMPUTE_PGM_RSRC2:TGID_Z_EN: 0
; COMPUTE_PGM_RSRC2:TIDIG_COMP_CNT: 0
; COMPUTE_PGM_RSRC3_GFX90A:ACCUM_OFFSET: 1
; COMPUTE_PGM_RSRC3_GFX90A:TG_SPLIT: 0
	.section	.text._Z6kernelI2upN15benchmark_utils11custom_typeIddEELj256ELj3ELj100EEvPKT0_PS4_,"axG",@progbits,_Z6kernelI2upN15benchmark_utils11custom_typeIddEELj256ELj3ELj100EEvPKT0_PS4_,comdat
	.protected	_Z6kernelI2upN15benchmark_utils11custom_typeIddEELj256ELj3ELj100EEvPKT0_PS4_ ; -- Begin function _Z6kernelI2upN15benchmark_utils11custom_typeIddEELj256ELj3ELj100EEvPKT0_PS4_
	.globl	_Z6kernelI2upN15benchmark_utils11custom_typeIddEELj256ELj3ELj100EEvPKT0_PS4_
	.p2align	8
	.type	_Z6kernelI2upN15benchmark_utils11custom_typeIddEELj256ELj3ELj100EEvPKT0_PS4_,@function
_Z6kernelI2upN15benchmark_utils11custom_typeIddEELj256ELj3ELj100EEvPKT0_PS4_: ; @_Z6kernelI2upN15benchmark_utils11custom_typeIddEELj256ELj3ELj100EEvPKT0_PS4_
; %bb.0:
	s_load_dwordx4 s[0:3], s[4:5], 0x0
	v_lshl_or_b32 v1, s6, 8, v0
	v_lshl_add_u32 v10, v1, 1, v1
	v_mov_b32_e32 v11, 0
	v_lshlrev_b64 v[18:19], 4, v[10:11]
	s_waitcnt lgkmcnt(0)
	v_mov_b32_e32 v1, s1
	v_add_co_u32_e32 v12, vcc, s0, v18
	v_add_u32_e32 v2, 1, v10
	v_mov_b32_e32 v3, v11
	v_addc_co_u32_e32 v13, vcc, v1, v19, vcc
	v_lshlrev_b64 v[20:21], 4, v[2:3]
	v_add_co_u32_e32 v14, vcc, s0, v20
	v_add_u32_e32 v10, 2, v10
	v_addc_co_u32_e32 v15, vcc, v1, v21, vcc
	v_lshlrev_b64 v[22:23], 4, v[10:11]
	v_add_co_u32_e32 v10, vcc, s0, v22
	v_addc_co_u32_e32 v11, vcc, v1, v23, vcc
	global_load_dwordx4 v[6:9], v[12:13], off
	global_load_dwordx4 v[2:5], v[14:15], off
	v_lshlrev_b32_e32 v1, 4, v0
	global_load_dwordx4 v[14:17], v[10:11], off
	v_cmp_ne_u32_e32 vcc, 0, v0
	v_add_u32_e32 v0, -16, v1
	s_movk_i32 s4, 0x64
.LBB51_1:                               ; =>This Inner Loop Header: Depth=1
	s_waitcnt vmcnt(2)
	v_pk_mov_b32 v[12:13], v[8:9], v[8:9] op_sel:[0,1]
	v_pk_mov_b32 v[10:11], v[6:7], v[6:7] op_sel:[0,1]
	s_waitcnt vmcnt(0)
	ds_write2_b64 v1, v[14:15], v[16:17] offset1:1
	s_waitcnt lgkmcnt(0)
	s_barrier
	s_and_saveexec_b64 s[0:1], vcc
	s_cbranch_execz .LBB51_3
; %bb.2:                                ;   in Loop: Header=BB51_1 Depth=1
	ds_read2_b64 v[10:13], v0 offset1:1
.LBB51_3:                               ;   in Loop: Header=BB51_1 Depth=1
	s_or_b64 exec, exec, s[0:1]
	s_add_i32 s4, s4, -1
	s_cmp_lg_u32 s4, 0
	s_waitcnt lgkmcnt(0)
	s_barrier
	s_cbranch_scc0 .LBB51_5
; %bb.4:                                ;   in Loop: Header=BB51_1 Depth=1
	v_pk_mov_b32 v[16:17], v[4:5], v[4:5] op_sel:[0,1]
	v_pk_mov_b32 v[14:15], v[2:3], v[2:3] op_sel:[0,1]
	;; [unrolled: 1-line block ×6, first 2 shown]
	s_branch .LBB51_1
.LBB51_5:
	v_mov_b32_e32 v1, s3
	v_add_co_u32_e32 v0, vcc, s2, v18
	v_addc_co_u32_e32 v1, vcc, v1, v19, vcc
	global_store_dwordx4 v[0:1], v[10:13], off
	v_mov_b32_e32 v1, s3
	v_add_co_u32_e32 v0, vcc, s2, v20
	v_addc_co_u32_e32 v1, vcc, v1, v21, vcc
	global_store_dwordx4 v[0:1], v[6:9], off
	;; [unrolled: 4-line block ×3, first 2 shown]
	s_endpgm
	.section	.rodata,"a",@progbits
	.p2align	6, 0x0
	.amdhsa_kernel _Z6kernelI2upN15benchmark_utils11custom_typeIddEELj256ELj3ELj100EEvPKT0_PS4_
		.amdhsa_group_segment_fixed_size 4096
		.amdhsa_private_segment_fixed_size 0
		.amdhsa_kernarg_size 16
		.amdhsa_user_sgpr_count 6
		.amdhsa_user_sgpr_private_segment_buffer 1
		.amdhsa_user_sgpr_dispatch_ptr 0
		.amdhsa_user_sgpr_queue_ptr 0
		.amdhsa_user_sgpr_kernarg_segment_ptr 1
		.amdhsa_user_sgpr_dispatch_id 0
		.amdhsa_user_sgpr_flat_scratch_init 0
		.amdhsa_user_sgpr_kernarg_preload_length 0
		.amdhsa_user_sgpr_kernarg_preload_offset 0
		.amdhsa_user_sgpr_private_segment_size 0
		.amdhsa_uses_dynamic_stack 0
		.amdhsa_system_sgpr_private_segment_wavefront_offset 0
		.amdhsa_system_sgpr_workgroup_id_x 1
		.amdhsa_system_sgpr_workgroup_id_y 0
		.amdhsa_system_sgpr_workgroup_id_z 0
		.amdhsa_system_sgpr_workgroup_info 0
		.amdhsa_system_vgpr_workitem_id 0
		.amdhsa_next_free_vgpr 24
		.amdhsa_next_free_sgpr 7
		.amdhsa_accum_offset 24
		.amdhsa_reserve_vcc 1
		.amdhsa_reserve_flat_scratch 0
		.amdhsa_float_round_mode_32 0
		.amdhsa_float_round_mode_16_64 0
		.amdhsa_float_denorm_mode_32 3
		.amdhsa_float_denorm_mode_16_64 3
		.amdhsa_dx10_clamp 1
		.amdhsa_ieee_mode 1
		.amdhsa_fp16_overflow 0
		.amdhsa_tg_split 0
		.amdhsa_exception_fp_ieee_invalid_op 0
		.amdhsa_exception_fp_denorm_src 0
		.amdhsa_exception_fp_ieee_div_zero 0
		.amdhsa_exception_fp_ieee_overflow 0
		.amdhsa_exception_fp_ieee_underflow 0
		.amdhsa_exception_fp_ieee_inexact 0
		.amdhsa_exception_int_div_zero 0
	.end_amdhsa_kernel
	.section	.text._Z6kernelI2upN15benchmark_utils11custom_typeIddEELj256ELj3ELj100EEvPKT0_PS4_,"axG",@progbits,_Z6kernelI2upN15benchmark_utils11custom_typeIddEELj256ELj3ELj100EEvPKT0_PS4_,comdat
.Lfunc_end51:
	.size	_Z6kernelI2upN15benchmark_utils11custom_typeIddEELj256ELj3ELj100EEvPKT0_PS4_, .Lfunc_end51-_Z6kernelI2upN15benchmark_utils11custom_typeIddEELj256ELj3ELj100EEvPKT0_PS4_
                                        ; -- End function
	.section	.AMDGPU.csdata,"",@progbits
; Kernel info:
; codeLenInByte = 332
; NumSgprs: 11
; NumVgprs: 24
; NumAgprs: 0
; TotalNumVgprs: 24
; ScratchSize: 0
; MemoryBound: 0
; FloatMode: 240
; IeeeMode: 1
; LDSByteSize: 4096 bytes/workgroup (compile time only)
; SGPRBlocks: 1
; VGPRBlocks: 2
; NumSGPRsForWavesPerEU: 11
; NumVGPRsForWavesPerEU: 24
; AccumOffset: 24
; Occupancy: 8
; WaveLimiterHint : 0
; COMPUTE_PGM_RSRC2:SCRATCH_EN: 0
; COMPUTE_PGM_RSRC2:USER_SGPR: 6
; COMPUTE_PGM_RSRC2:TRAP_HANDLER: 0
; COMPUTE_PGM_RSRC2:TGID_X_EN: 1
; COMPUTE_PGM_RSRC2:TGID_Y_EN: 0
; COMPUTE_PGM_RSRC2:TGID_Z_EN: 0
; COMPUTE_PGM_RSRC2:TIDIG_COMP_CNT: 0
; COMPUTE_PGM_RSRC3_GFX90A:ACCUM_OFFSET: 5
; COMPUTE_PGM_RSRC3_GFX90A:TG_SPLIT: 0
	.section	.text._Z6kernelI2upN15benchmark_utils11custom_typeIddEELj256ELj4ELj100EEvPKT0_PS4_,"axG",@progbits,_Z6kernelI2upN15benchmark_utils11custom_typeIddEELj256ELj4ELj100EEvPKT0_PS4_,comdat
	.protected	_Z6kernelI2upN15benchmark_utils11custom_typeIddEELj256ELj4ELj100EEvPKT0_PS4_ ; -- Begin function _Z6kernelI2upN15benchmark_utils11custom_typeIddEELj256ELj4ELj100EEvPKT0_PS4_
	.globl	_Z6kernelI2upN15benchmark_utils11custom_typeIddEELj256ELj4ELj100EEvPKT0_PS4_
	.p2align	8
	.type	_Z6kernelI2upN15benchmark_utils11custom_typeIddEELj256ELj4ELj100EEvPKT0_PS4_,@function
_Z6kernelI2upN15benchmark_utils11custom_typeIddEELj256ELj4ELj100EEvPKT0_PS4_: ; @_Z6kernelI2upN15benchmark_utils11custom_typeIddEELj256ELj4ELj100EEvPKT0_PS4_
; %bb.0:
	s_load_dwordx4 s[0:3], s[4:5], 0x0
	v_lshlrev_b32_e32 v1, 2, v0
	v_lshl_or_b32 v2, s6, 10, v1
	v_mov_b32_e32 v3, 0
	v_lshlrev_b64 v[22:23], 4, v[2:3]
	s_waitcnt lgkmcnt(0)
	v_mov_b32_e32 v1, s1
	v_add_co_u32_e32 v18, vcc, s0, v22
	v_addc_co_u32_e32 v19, vcc, v1, v23, vcc
	global_load_dwordx4 v[14:17], v[18:19], off offset:48
	global_load_dwordx4 v[2:5], v[18:19], off offset:32
	;; [unrolled: 1-line block ×3, first 2 shown]
	global_load_dwordx4 v[10:13], v[18:19], off
	v_lshlrev_b32_e32 v1, 4, v0
	v_cmp_ne_u32_e32 vcc, 0, v0
	v_add_u32_e32 v0, -16, v1
	s_movk_i32 s4, 0x64
.LBB52_1:                               ; =>This Inner Loop Header: Depth=1
	s_waitcnt vmcnt(0)
	v_pk_mov_b32 v[20:21], v[12:13], v[12:13] op_sel:[0,1]
	v_pk_mov_b32 v[18:19], v[10:11], v[10:11] op_sel:[0,1]
	ds_write2_b64 v1, v[14:15], v[16:17] offset1:1
	s_waitcnt lgkmcnt(0)
	s_barrier
	s_and_saveexec_b64 s[0:1], vcc
	s_cbranch_execz .LBB52_3
; %bb.2:                                ;   in Loop: Header=BB52_1 Depth=1
	ds_read2_b64 v[18:21], v0 offset1:1
.LBB52_3:                               ;   in Loop: Header=BB52_1 Depth=1
	s_or_b64 exec, exec, s[0:1]
	s_add_i32 s4, s4, -1
	s_cmp_lg_u32 s4, 0
	s_waitcnt lgkmcnt(0)
	s_barrier
	s_cbranch_scc0 .LBB52_5
; %bb.4:                                ;   in Loop: Header=BB52_1 Depth=1
	v_pk_mov_b32 v[16:17], v[4:5], v[4:5] op_sel:[0,1]
	v_pk_mov_b32 v[14:15], v[2:3], v[2:3] op_sel:[0,1]
	;; [unrolled: 1-line block ×8, first 2 shown]
	s_branch .LBB52_1
.LBB52_5:
	v_mov_b32_e32 v1, s3
	v_add_co_u32_e32 v0, vcc, s2, v22
	v_addc_co_u32_e32 v1, vcc, v1, v23, vcc
	global_store_dwordx4 v[0:1], v[18:21], off
	global_store_dwordx4 v[0:1], v[10:13], off offset:16
	global_store_dwordx4 v[0:1], v[6:9], off offset:32
	global_store_dwordx4 v[0:1], v[2:5], off offset:48
	s_endpgm
	.section	.rodata,"a",@progbits
	.p2align	6, 0x0
	.amdhsa_kernel _Z6kernelI2upN15benchmark_utils11custom_typeIddEELj256ELj4ELj100EEvPKT0_PS4_
		.amdhsa_group_segment_fixed_size 4096
		.amdhsa_private_segment_fixed_size 0
		.amdhsa_kernarg_size 16
		.amdhsa_user_sgpr_count 6
		.amdhsa_user_sgpr_private_segment_buffer 1
		.amdhsa_user_sgpr_dispatch_ptr 0
		.amdhsa_user_sgpr_queue_ptr 0
		.amdhsa_user_sgpr_kernarg_segment_ptr 1
		.amdhsa_user_sgpr_dispatch_id 0
		.amdhsa_user_sgpr_flat_scratch_init 0
		.amdhsa_user_sgpr_kernarg_preload_length 0
		.amdhsa_user_sgpr_kernarg_preload_offset 0
		.amdhsa_user_sgpr_private_segment_size 0
		.amdhsa_uses_dynamic_stack 0
		.amdhsa_system_sgpr_private_segment_wavefront_offset 0
		.amdhsa_system_sgpr_workgroup_id_x 1
		.amdhsa_system_sgpr_workgroup_id_y 0
		.amdhsa_system_sgpr_workgroup_id_z 0
		.amdhsa_system_sgpr_workgroup_info 0
		.amdhsa_system_vgpr_workitem_id 0
		.amdhsa_next_free_vgpr 24
		.amdhsa_next_free_sgpr 7
		.amdhsa_accum_offset 24
		.amdhsa_reserve_vcc 1
		.amdhsa_reserve_flat_scratch 0
		.amdhsa_float_round_mode_32 0
		.amdhsa_float_round_mode_16_64 0
		.amdhsa_float_denorm_mode_32 3
		.amdhsa_float_denorm_mode_16_64 3
		.amdhsa_dx10_clamp 1
		.amdhsa_ieee_mode 1
		.amdhsa_fp16_overflow 0
		.amdhsa_tg_split 0
		.amdhsa_exception_fp_ieee_invalid_op 0
		.amdhsa_exception_fp_denorm_src 0
		.amdhsa_exception_fp_ieee_div_zero 0
		.amdhsa_exception_fp_ieee_overflow 0
		.amdhsa_exception_fp_ieee_underflow 0
		.amdhsa_exception_fp_ieee_inexact 0
		.amdhsa_exception_int_div_zero 0
	.end_amdhsa_kernel
	.section	.text._Z6kernelI2upN15benchmark_utils11custom_typeIddEELj256ELj4ELj100EEvPKT0_PS4_,"axG",@progbits,_Z6kernelI2upN15benchmark_utils11custom_typeIddEELj256ELj4ELj100EEvPKT0_PS4_,comdat
.Lfunc_end52:
	.size	_Z6kernelI2upN15benchmark_utils11custom_typeIddEELj256ELj4ELj100EEvPKT0_PS4_, .Lfunc_end52-_Z6kernelI2upN15benchmark_utils11custom_typeIddEELj256ELj4ELj100EEvPKT0_PS4_
                                        ; -- End function
	.section	.AMDGPU.csdata,"",@progbits
; Kernel info:
; codeLenInByte = 288
; NumSgprs: 11
; NumVgprs: 24
; NumAgprs: 0
; TotalNumVgprs: 24
; ScratchSize: 0
; MemoryBound: 1
; FloatMode: 240
; IeeeMode: 1
; LDSByteSize: 4096 bytes/workgroup (compile time only)
; SGPRBlocks: 1
; VGPRBlocks: 2
; NumSGPRsForWavesPerEU: 11
; NumVGPRsForWavesPerEU: 24
; AccumOffset: 24
; Occupancy: 8
; WaveLimiterHint : 0
; COMPUTE_PGM_RSRC2:SCRATCH_EN: 0
; COMPUTE_PGM_RSRC2:USER_SGPR: 6
; COMPUTE_PGM_RSRC2:TRAP_HANDLER: 0
; COMPUTE_PGM_RSRC2:TGID_X_EN: 1
; COMPUTE_PGM_RSRC2:TGID_Y_EN: 0
; COMPUTE_PGM_RSRC2:TGID_Z_EN: 0
; COMPUTE_PGM_RSRC2:TIDIG_COMP_CNT: 0
; COMPUTE_PGM_RSRC3_GFX90A:ACCUM_OFFSET: 5
; COMPUTE_PGM_RSRC3_GFX90A:TG_SPLIT: 0
	.section	.text._Z6kernelI2upN15benchmark_utils11custom_typeIddEELj256ELj8ELj100EEvPKT0_PS4_,"axG",@progbits,_Z6kernelI2upN15benchmark_utils11custom_typeIddEELj256ELj8ELj100EEvPKT0_PS4_,comdat
	.protected	_Z6kernelI2upN15benchmark_utils11custom_typeIddEELj256ELj8ELj100EEvPKT0_PS4_ ; -- Begin function _Z6kernelI2upN15benchmark_utils11custom_typeIddEELj256ELj8ELj100EEvPKT0_PS4_
	.globl	_Z6kernelI2upN15benchmark_utils11custom_typeIddEELj256ELj8ELj100EEvPKT0_PS4_
	.p2align	8
	.type	_Z6kernelI2upN15benchmark_utils11custom_typeIddEELj256ELj8ELj100EEvPKT0_PS4_,@function
_Z6kernelI2upN15benchmark_utils11custom_typeIddEELj256ELj8ELj100EEvPKT0_PS4_: ; @_Z6kernelI2upN15benchmark_utils11custom_typeIddEELj256ELj8ELj100EEvPKT0_PS4_
; %bb.0:
	s_load_dwordx4 s[0:3], s[4:5], 0x0
	v_lshlrev_b32_e32 v1, 3, v0
	v_lshl_or_b32 v2, s6, 11, v1
	v_mov_b32_e32 v3, 0
	v_lshlrev_b64 v[38:39], 4, v[2:3]
	s_waitcnt lgkmcnt(0)
	v_mov_b32_e32 v1, s1
	v_add_co_u32_e32 v34, vcc, s0, v38
	v_addc_co_u32_e32 v35, vcc, v1, v39, vcc
	global_load_dwordx4 v[2:5], v[34:35], off offset:48
	global_load_dwordx4 v[6:9], v[34:35], off offset:32
	;; [unrolled: 1-line block ×3, first 2 shown]
	global_load_dwordx4 v[22:25], v[34:35], off
	global_load_dwordx4 v[30:33], v[34:35], off offset:112
	global_load_dwordx4 v[10:13], v[34:35], off offset:96
	;; [unrolled: 1-line block ×4, first 2 shown]
	v_lshlrev_b32_e32 v1, 4, v0
	v_cmp_ne_u32_e32 vcc, 0, v0
	v_add_u32_e32 v0, -16, v1
	s_movk_i32 s4, 0x64
.LBB53_1:                               ; =>This Inner Loop Header: Depth=1
	s_waitcnt vmcnt(4)
	v_pk_mov_b32 v[36:37], v[24:25], v[24:25] op_sel:[0,1]
	v_pk_mov_b32 v[34:35], v[22:23], v[22:23] op_sel:[0,1]
	s_waitcnt vmcnt(3)
	ds_write2_b64 v1, v[30:31], v[32:33] offset1:1
	s_waitcnt lgkmcnt(0)
	s_barrier
	s_and_saveexec_b64 s[0:1], vcc
	s_cbranch_execz .LBB53_3
; %bb.2:                                ;   in Loop: Header=BB53_1 Depth=1
	ds_read2_b64 v[34:37], v0 offset1:1
.LBB53_3:                               ;   in Loop: Header=BB53_1 Depth=1
	s_or_b64 exec, exec, s[0:1]
	s_add_i32 s4, s4, -1
	s_cmp_lg_u32 s4, 0
	s_waitcnt lgkmcnt(0)
	s_barrier
	s_cbranch_scc0 .LBB53_5
; %bb.4:                                ;   in Loop: Header=BB53_1 Depth=1
	s_waitcnt vmcnt(2)
	v_pk_mov_b32 v[32:33], v[12:13], v[12:13] op_sel:[0,1]
	v_pk_mov_b32 v[30:31], v[10:11], v[10:11] op_sel:[0,1]
	s_waitcnt vmcnt(1)
	v_pk_mov_b32 v[12:13], v[20:21], v[20:21] op_sel:[0,1]
	v_pk_mov_b32 v[10:11], v[18:19], v[18:19] op_sel:[0,1]
	;; [unrolled: 3-line block ×3, first 2 shown]
	v_pk_mov_b32 v[28:29], v[4:5], v[4:5] op_sel:[0,1]
	v_pk_mov_b32 v[26:27], v[2:3], v[2:3] op_sel:[0,1]
	;; [unrolled: 1-line block ×10, first 2 shown]
	s_branch .LBB53_1
.LBB53_5:
	v_mov_b32_e32 v1, s3
	v_add_co_u32_e32 v0, vcc, s2, v38
	v_addc_co_u32_e32 v1, vcc, v1, v39, vcc
	global_store_dwordx4 v[0:1], v[34:37], off
	global_store_dwordx4 v[0:1], v[22:25], off offset:16
	global_store_dwordx4 v[0:1], v[14:17], off offset:32
	;; [unrolled: 1-line block ×4, first 2 shown]
	s_waitcnt vmcnt(5)
	global_store_dwordx4 v[0:1], v[26:29], off offset:80
	global_store_dwordx4 v[0:1], v[18:21], off offset:96
	;; [unrolled: 1-line block ×3, first 2 shown]
	s_endpgm
	.section	.rodata,"a",@progbits
	.p2align	6, 0x0
	.amdhsa_kernel _Z6kernelI2upN15benchmark_utils11custom_typeIddEELj256ELj8ELj100EEvPKT0_PS4_
		.amdhsa_group_segment_fixed_size 4096
		.amdhsa_private_segment_fixed_size 0
		.amdhsa_kernarg_size 16
		.amdhsa_user_sgpr_count 6
		.amdhsa_user_sgpr_private_segment_buffer 1
		.amdhsa_user_sgpr_dispatch_ptr 0
		.amdhsa_user_sgpr_queue_ptr 0
		.amdhsa_user_sgpr_kernarg_segment_ptr 1
		.amdhsa_user_sgpr_dispatch_id 0
		.amdhsa_user_sgpr_flat_scratch_init 0
		.amdhsa_user_sgpr_kernarg_preload_length 0
		.amdhsa_user_sgpr_kernarg_preload_offset 0
		.amdhsa_user_sgpr_private_segment_size 0
		.amdhsa_uses_dynamic_stack 0
		.amdhsa_system_sgpr_private_segment_wavefront_offset 0
		.amdhsa_system_sgpr_workgroup_id_x 1
		.amdhsa_system_sgpr_workgroup_id_y 0
		.amdhsa_system_sgpr_workgroup_id_z 0
		.amdhsa_system_sgpr_workgroup_info 0
		.amdhsa_system_vgpr_workitem_id 0
		.amdhsa_next_free_vgpr 40
		.amdhsa_next_free_sgpr 7
		.amdhsa_accum_offset 40
		.amdhsa_reserve_vcc 1
		.amdhsa_reserve_flat_scratch 0
		.amdhsa_float_round_mode_32 0
		.amdhsa_float_round_mode_16_64 0
		.amdhsa_float_denorm_mode_32 3
		.amdhsa_float_denorm_mode_16_64 3
		.amdhsa_dx10_clamp 1
		.amdhsa_ieee_mode 1
		.amdhsa_fp16_overflow 0
		.amdhsa_tg_split 0
		.amdhsa_exception_fp_ieee_invalid_op 0
		.amdhsa_exception_fp_denorm_src 0
		.amdhsa_exception_fp_ieee_div_zero 0
		.amdhsa_exception_fp_ieee_overflow 0
		.amdhsa_exception_fp_ieee_underflow 0
		.amdhsa_exception_fp_ieee_inexact 0
		.amdhsa_exception_int_div_zero 0
	.end_amdhsa_kernel
	.section	.text._Z6kernelI2upN15benchmark_utils11custom_typeIddEELj256ELj8ELj100EEvPKT0_PS4_,"axG",@progbits,_Z6kernelI2upN15benchmark_utils11custom_typeIddEELj256ELj8ELj100EEvPKT0_PS4_,comdat
.Lfunc_end53:
	.size	_Z6kernelI2upN15benchmark_utils11custom_typeIddEELj256ELj8ELj100EEvPKT0_PS4_, .Lfunc_end53-_Z6kernelI2upN15benchmark_utils11custom_typeIddEELj256ELj8ELj100EEvPKT0_PS4_
                                        ; -- End function
	.section	.AMDGPU.csdata,"",@progbits
; Kernel info:
; codeLenInByte = 436
; NumSgprs: 11
; NumVgprs: 40
; NumAgprs: 0
; TotalNumVgprs: 40
; ScratchSize: 0
; MemoryBound: 1
; FloatMode: 240
; IeeeMode: 1
; LDSByteSize: 4096 bytes/workgroup (compile time only)
; SGPRBlocks: 1
; VGPRBlocks: 4
; NumSGPRsForWavesPerEU: 11
; NumVGPRsForWavesPerEU: 40
; AccumOffset: 40
; Occupancy: 8
; WaveLimiterHint : 0
; COMPUTE_PGM_RSRC2:SCRATCH_EN: 0
; COMPUTE_PGM_RSRC2:USER_SGPR: 6
; COMPUTE_PGM_RSRC2:TRAP_HANDLER: 0
; COMPUTE_PGM_RSRC2:TGID_X_EN: 1
; COMPUTE_PGM_RSRC2:TGID_Y_EN: 0
; COMPUTE_PGM_RSRC2:TGID_Z_EN: 0
; COMPUTE_PGM_RSRC2:TIDIG_COMP_CNT: 0
; COMPUTE_PGM_RSRC3_GFX90A:ACCUM_OFFSET: 9
; COMPUTE_PGM_RSRC3_GFX90A:TG_SPLIT: 0
	.section	.text._Z6kernelI2upN15benchmark_utils11custom_typeIddEELj256ELj16ELj100EEvPKT0_PS4_,"axG",@progbits,_Z6kernelI2upN15benchmark_utils11custom_typeIddEELj256ELj16ELj100EEvPKT0_PS4_,comdat
	.protected	_Z6kernelI2upN15benchmark_utils11custom_typeIddEELj256ELj16ELj100EEvPKT0_PS4_ ; -- Begin function _Z6kernelI2upN15benchmark_utils11custom_typeIddEELj256ELj16ELj100EEvPKT0_PS4_
	.globl	_Z6kernelI2upN15benchmark_utils11custom_typeIddEELj256ELj16ELj100EEvPKT0_PS4_
	.p2align	8
	.type	_Z6kernelI2upN15benchmark_utils11custom_typeIddEELj256ELj16ELj100EEvPKT0_PS4_,@function
_Z6kernelI2upN15benchmark_utils11custom_typeIddEELj256ELj16ELj100EEvPKT0_PS4_: ; @_Z6kernelI2upN15benchmark_utils11custom_typeIddEELj256ELj16ELj100EEvPKT0_PS4_
; %bb.0:
	s_load_dwordx4 s[0:3], s[4:5], 0x0
	v_lshlrev_b32_e32 v1, 4, v0
	v_lshl_or_b32 v2, s6, 12, v1
	v_mov_b32_e32 v3, 0
	v_lshlrev_b64 v[70:71], 4, v[2:3]
	s_waitcnt lgkmcnt(0)
	v_mov_b32_e32 v2, s1
	v_add_co_u32_e32 v58, vcc, s0, v70
	v_addc_co_u32_e32 v59, vcc, v2, v71, vcc
	global_load_dwordx4 v[2:5], v[58:59], off offset:48
	global_load_dwordx4 v[10:13], v[58:59], off offset:32
	;; [unrolled: 1-line block ×3, first 2 shown]
	global_load_dwordx4 v[38:41], v[58:59], off
	global_load_dwordx4 v[6:9], v[58:59], off offset:112
	global_load_dwordx4 v[18:21], v[58:59], off offset:96
	;; [unrolled: 1-line block ×11, first 2 shown]
	s_nop 0
	global_load_dwordx4 v[58:61], v[58:59], off offset:192
	v_cmp_ne_u32_e32 vcc, 0, v0
	v_add_u32_e32 v0, -16, v1
	s_movk_i32 s4, 0x64
.LBB54_1:                               ; =>This Inner Loop Header: Depth=1
	s_waitcnt vmcnt(12)
	v_pk_mov_b32 v[68:69], v[40:41], v[40:41] op_sel:[0,1]
	v_pk_mov_b32 v[66:67], v[38:39], v[38:39] op_sel:[0,1]
	s_waitcnt vmcnt(3)
	ds_write2_b64 v1, v[62:63], v[64:65] offset1:1
	s_waitcnt lgkmcnt(0)
	s_barrier
	s_and_saveexec_b64 s[0:1], vcc
	s_cbranch_execz .LBB54_3
; %bb.2:                                ;   in Loop: Header=BB54_1 Depth=1
	ds_read2_b64 v[66:69], v0 offset1:1
.LBB54_3:                               ;   in Loop: Header=BB54_1 Depth=1
	s_or_b64 exec, exec, s[0:1]
	s_add_i32 s4, s4, -1
	s_cmp_lg_u32 s4, 0
	s_waitcnt lgkmcnt(0)
	s_barrier
	s_cbranch_scc0 .LBB54_5
; %bb.4:                                ;   in Loop: Header=BB54_1 Depth=1
	s_waitcnt vmcnt(2)
	v_pk_mov_b32 v[64:65], v[36:37], v[36:37] op_sel:[0,1]
	v_pk_mov_b32 v[62:63], v[34:35], v[34:35] op_sel:[0,1]
	s_waitcnt vmcnt(1)
	v_pk_mov_b32 v[36:37], v[52:53], v[52:53] op_sel:[0,1]
	v_pk_mov_b32 v[34:35], v[50:51], v[50:51] op_sel:[0,1]
	;; [unrolled: 3-line block ×3, first 2 shown]
	v_pk_mov_b32 v[60:61], v[16:17], v[16:17] op_sel:[0,1]
	v_pk_mov_b32 v[58:59], v[14:15], v[14:15] op_sel:[0,1]
	;; [unrolled: 1-line block ×26, first 2 shown]
	s_branch .LBB54_1
.LBB54_5:
	v_mov_b32_e32 v1, s3
	v_add_co_u32_e32 v0, vcc, s2, v70
	v_addc_co_u32_e32 v1, vcc, v1, v71, vcc
	global_store_dwordx4 v[0:1], v[66:69], off
	global_store_dwordx4 v[0:1], v[38:41], off offset:16
	global_store_dwordx4 v[0:1], v[22:25], off offset:32
	;; [unrolled: 1-line block ×12, first 2 shown]
	s_waitcnt vmcnt(13)
	global_store_dwordx4 v[0:1], v[58:61], off offset:208
	global_store_dwordx4 v[0:1], v[50:53], off offset:224
	;; [unrolled: 1-line block ×3, first 2 shown]
	s_endpgm
	.section	.rodata,"a",@progbits
	.p2align	6, 0x0
	.amdhsa_kernel _Z6kernelI2upN15benchmark_utils11custom_typeIddEELj256ELj16ELj100EEvPKT0_PS4_
		.amdhsa_group_segment_fixed_size 4096
		.amdhsa_private_segment_fixed_size 0
		.amdhsa_kernarg_size 16
		.amdhsa_user_sgpr_count 6
		.amdhsa_user_sgpr_private_segment_buffer 1
		.amdhsa_user_sgpr_dispatch_ptr 0
		.amdhsa_user_sgpr_queue_ptr 0
		.amdhsa_user_sgpr_kernarg_segment_ptr 1
		.amdhsa_user_sgpr_dispatch_id 0
		.amdhsa_user_sgpr_flat_scratch_init 0
		.amdhsa_user_sgpr_kernarg_preload_length 0
		.amdhsa_user_sgpr_kernarg_preload_offset 0
		.amdhsa_user_sgpr_private_segment_size 0
		.amdhsa_uses_dynamic_stack 0
		.amdhsa_system_sgpr_private_segment_wavefront_offset 0
		.amdhsa_system_sgpr_workgroup_id_x 1
		.amdhsa_system_sgpr_workgroup_id_y 0
		.amdhsa_system_sgpr_workgroup_id_z 0
		.amdhsa_system_sgpr_workgroup_info 0
		.amdhsa_system_vgpr_workitem_id 0
		.amdhsa_next_free_vgpr 72
		.amdhsa_next_free_sgpr 7
		.amdhsa_accum_offset 72
		.amdhsa_reserve_vcc 1
		.amdhsa_reserve_flat_scratch 0
		.amdhsa_float_round_mode_32 0
		.amdhsa_float_round_mode_16_64 0
		.amdhsa_float_denorm_mode_32 3
		.amdhsa_float_denorm_mode_16_64 3
		.amdhsa_dx10_clamp 1
		.amdhsa_ieee_mode 1
		.amdhsa_fp16_overflow 0
		.amdhsa_tg_split 0
		.amdhsa_exception_fp_ieee_invalid_op 0
		.amdhsa_exception_fp_denorm_src 0
		.amdhsa_exception_fp_ieee_div_zero 0
		.amdhsa_exception_fp_ieee_overflow 0
		.amdhsa_exception_fp_ieee_underflow 0
		.amdhsa_exception_fp_ieee_inexact 0
		.amdhsa_exception_int_div_zero 0
	.end_amdhsa_kernel
	.section	.text._Z6kernelI2upN15benchmark_utils11custom_typeIddEELj256ELj16ELj100EEvPKT0_PS4_,"axG",@progbits,_Z6kernelI2upN15benchmark_utils11custom_typeIddEELj256ELj16ELj100EEvPKT0_PS4_,comdat
.Lfunc_end54:
	.size	_Z6kernelI2upN15benchmark_utils11custom_typeIddEELj256ELj16ELj100EEvPKT0_PS4_, .Lfunc_end54-_Z6kernelI2upN15benchmark_utils11custom_typeIddEELj256ELj16ELj100EEvPKT0_PS4_
                                        ; -- End function
	.section	.AMDGPU.csdata,"",@progbits
; Kernel info:
; codeLenInByte = 692
; NumSgprs: 11
; NumVgprs: 72
; NumAgprs: 0
; TotalNumVgprs: 72
; ScratchSize: 0
; MemoryBound: 1
; FloatMode: 240
; IeeeMode: 1
; LDSByteSize: 4096 bytes/workgroup (compile time only)
; SGPRBlocks: 1
; VGPRBlocks: 8
; NumSGPRsForWavesPerEU: 11
; NumVGPRsForWavesPerEU: 72
; AccumOffset: 72
; Occupancy: 7
; WaveLimiterHint : 0
; COMPUTE_PGM_RSRC2:SCRATCH_EN: 0
; COMPUTE_PGM_RSRC2:USER_SGPR: 6
; COMPUTE_PGM_RSRC2:TRAP_HANDLER: 0
; COMPUTE_PGM_RSRC2:TGID_X_EN: 1
; COMPUTE_PGM_RSRC2:TGID_Y_EN: 0
; COMPUTE_PGM_RSRC2:TGID_Z_EN: 0
; COMPUTE_PGM_RSRC2:TIDIG_COMP_CNT: 0
; COMPUTE_PGM_RSRC3_GFX90A:ACCUM_OFFSET: 17
; COMPUTE_PGM_RSRC3_GFX90A:TG_SPLIT: 0
	.section	.text._Z6kernelI2upN15benchmark_utils11custom_typeIddEELj256ELj32ELj100EEvPKT0_PS4_,"axG",@progbits,_Z6kernelI2upN15benchmark_utils11custom_typeIddEELj256ELj32ELj100EEvPKT0_PS4_,comdat
	.protected	_Z6kernelI2upN15benchmark_utils11custom_typeIddEELj256ELj32ELj100EEvPKT0_PS4_ ; -- Begin function _Z6kernelI2upN15benchmark_utils11custom_typeIddEELj256ELj32ELj100EEvPKT0_PS4_
	.globl	_Z6kernelI2upN15benchmark_utils11custom_typeIddEELj256ELj32ELj100EEvPKT0_PS4_
	.p2align	8
	.type	_Z6kernelI2upN15benchmark_utils11custom_typeIddEELj256ELj32ELj100EEvPKT0_PS4_,@function
_Z6kernelI2upN15benchmark_utils11custom_typeIddEELj256ELj32ELj100EEvPKT0_PS4_: ; @_Z6kernelI2upN15benchmark_utils11custom_typeIddEELj256ELj32ELj100EEvPKT0_PS4_
; %bb.0:
	s_load_dwordx4 s[0:3], s[4:5], 0x0
	v_lshlrev_b32_e32 v1, 5, v0
	v_lshl_or_b32 v2, s6, 13, v1
	v_mov_b32_e32 v3, 0
	v_lshlrev_b64 v[134:135], 4, v[2:3]
	s_waitcnt lgkmcnt(0)
	v_mov_b32_e32 v1, s1
	v_add_co_u32_e32 v122, vcc, s0, v134
	v_addc_co_u32_e32 v123, vcc, v1, v135, vcc
	global_load_dwordx4 v[2:5], v[122:123], off offset:48
	global_load_dwordx4 v[10:13], v[122:123], off offset:32
	;; [unrolled: 1-line block ×3, first 2 shown]
	global_load_dwordx4 v[50:53], v[122:123], off
	global_load_dwordx4 v[6:9], v[122:123], off offset:112
	global_load_dwordx4 v[18:21], v[122:123], off offset:96
	;; [unrolled: 1-line block ×27, first 2 shown]
	s_nop 0
	global_load_dwordx4 v[122:125], v[122:123], off offset:448
	v_lshlrev_b32_e32 v1, 4, v0
	v_cmp_ne_u32_e32 vcc, 0, v0
	v_add_u32_e32 v0, -16, v1
	s_movk_i32 s4, 0x64
.LBB55_1:                               ; =>This Inner Loop Header: Depth=1
	s_waitcnt vmcnt(28)
	v_pk_mov_b32 v[132:133], v[52:53], v[52:53] op_sel:[0,1]
	v_pk_mov_b32 v[130:131], v[50:51], v[50:51] op_sel:[0,1]
	s_waitcnt vmcnt(3)
	ds_write2_b64 v1, v[126:127], v[128:129] offset1:1
	s_waitcnt lgkmcnt(0)
	s_barrier
	s_and_saveexec_b64 s[0:1], vcc
	s_cbranch_execz .LBB55_3
; %bb.2:                                ;   in Loop: Header=BB55_1 Depth=1
	ds_read2_b64 v[130:133], v0 offset1:1
.LBB55_3:                               ;   in Loop: Header=BB55_1 Depth=1
	s_or_b64 exec, exec, s[0:1]
	s_add_i32 s4, s4, -1
	s_cmp_lg_u32 s4, 0
	s_waitcnt lgkmcnt(0)
	s_barrier
	s_cbranch_scc0 .LBB55_5
; %bb.4:                                ;   in Loop: Header=BB55_1 Depth=1
	s_waitcnt vmcnt(2)
	v_pk_mov_b32 v[128:129], v[100:101], v[100:101] op_sel:[0,1]
	v_pk_mov_b32 v[126:127], v[98:99], v[98:99] op_sel:[0,1]
	s_waitcnt vmcnt(1)
	v_pk_mov_b32 v[100:101], v[116:117], v[116:117] op_sel:[0,1]
	v_pk_mov_b32 v[98:99], v[114:115], v[114:115] op_sel:[0,1]
	;; [unrolled: 3-line block ×3, first 2 shown]
	v_pk_mov_b32 v[124:125], v[64:65], v[64:65] op_sel:[0,1]
	v_pk_mov_b32 v[122:123], v[62:63], v[62:63] op_sel:[0,1]
	v_pk_mov_b32 v[64:65], v[88:89], v[88:89] op_sel:[0,1]
	v_pk_mov_b32 v[62:63], v[86:87], v[86:87] op_sel:[0,1]
	v_pk_mov_b32 v[88:89], v[108:109], v[108:109] op_sel:[0,1]
	v_pk_mov_b32 v[86:87], v[106:107], v[106:107] op_sel:[0,1]
	v_pk_mov_b32 v[108:109], v[120:121], v[120:121] op_sel:[0,1]
	v_pk_mov_b32 v[106:107], v[118:119], v[118:119] op_sel:[0,1]
	v_pk_mov_b32 v[120:121], v[48:49], v[48:49] op_sel:[0,1]
	v_pk_mov_b32 v[118:119], v[46:47], v[46:47] op_sel:[0,1]
	v_pk_mov_b32 v[48:49], v[76:77], v[76:77] op_sel:[0,1]
	v_pk_mov_b32 v[46:47], v[74:75], v[74:75] op_sel:[0,1]
	v_pk_mov_b32 v[76:77], v[96:97], v[96:97] op_sel:[0,1]
	v_pk_mov_b32 v[74:75], v[94:95], v[94:95] op_sel:[0,1]
	v_pk_mov_b32 v[96:97], v[112:113], v[112:113] op_sel:[0,1]
	v_pk_mov_b32 v[94:95], v[110:111], v[110:111] op_sel:[0,1]
	v_pk_mov_b32 v[112:113], v[36:37], v[36:37] op_sel:[0,1]
	v_pk_mov_b32 v[110:111], v[34:35], v[34:35] op_sel:[0,1]
	v_pk_mov_b32 v[36:37], v[60:61], v[60:61] op_sel:[0,1]
	v_pk_mov_b32 v[34:35], v[58:59], v[58:59] op_sel:[0,1]
	v_pk_mov_b32 v[60:61], v[84:85], v[84:85] op_sel:[0,1]
	v_pk_mov_b32 v[58:59], v[82:83], v[82:83] op_sel:[0,1]
	v_pk_mov_b32 v[84:85], v[104:105], v[104:105] op_sel:[0,1]
	v_pk_mov_b32 v[82:83], v[102:103], v[102:103] op_sel:[0,1]
	v_pk_mov_b32 v[104:105], v[24:25], v[24:25] op_sel:[0,1]
	v_pk_mov_b32 v[102:103], v[22:23], v[22:23] op_sel:[0,1]
	v_pk_mov_b32 v[24:25], v[44:45], v[44:45] op_sel:[0,1]
	v_pk_mov_b32 v[22:23], v[42:43], v[42:43] op_sel:[0,1]
	v_pk_mov_b32 v[44:45], v[72:73], v[72:73] op_sel:[0,1]
	v_pk_mov_b32 v[42:43], v[70:71], v[70:71] op_sel:[0,1]
	v_pk_mov_b32 v[72:73], v[92:93], v[92:93] op_sel:[0,1]
	v_pk_mov_b32 v[70:71], v[90:91], v[90:91] op_sel:[0,1]
	v_pk_mov_b32 v[92:93], v[16:17], v[16:17] op_sel:[0,1]
	v_pk_mov_b32 v[90:91], v[14:15], v[14:15] op_sel:[0,1]
	v_pk_mov_b32 v[16:17], v[32:33], v[32:33] op_sel:[0,1]
	v_pk_mov_b32 v[14:15], v[30:31], v[30:31] op_sel:[0,1]
	v_pk_mov_b32 v[32:33], v[56:57], v[56:57] op_sel:[0,1]
	v_pk_mov_b32 v[30:31], v[54:55], v[54:55] op_sel:[0,1]
	v_pk_mov_b32 v[56:57], v[80:81], v[80:81] op_sel:[0,1]
	v_pk_mov_b32 v[54:55], v[78:79], v[78:79] op_sel:[0,1]
	v_pk_mov_b32 v[80:81], v[8:9], v[8:9] op_sel:[0,1]
	v_pk_mov_b32 v[78:79], v[6:7], v[6:7] op_sel:[0,1]
	v_pk_mov_b32 v[8:9], v[20:21], v[20:21] op_sel:[0,1]
	v_pk_mov_b32 v[6:7], v[18:19], v[18:19] op_sel:[0,1]
	v_pk_mov_b32 v[20:21], v[40:41], v[40:41] op_sel:[0,1]
	v_pk_mov_b32 v[18:19], v[38:39], v[38:39] op_sel:[0,1]
	v_pk_mov_b32 v[40:41], v[68:69], v[68:69] op_sel:[0,1]
	v_pk_mov_b32 v[38:39], v[66:67], v[66:67] op_sel:[0,1]
	v_pk_mov_b32 v[68:69], v[4:5], v[4:5] op_sel:[0,1]
	v_pk_mov_b32 v[66:67], v[2:3], v[2:3] op_sel:[0,1]
	v_pk_mov_b32 v[4:5], v[12:13], v[12:13] op_sel:[0,1]
	v_pk_mov_b32 v[2:3], v[10:11], v[10:11] op_sel:[0,1]
	v_pk_mov_b32 v[12:13], v[28:29], v[28:29] op_sel:[0,1]
	v_pk_mov_b32 v[10:11], v[26:27], v[26:27] op_sel:[0,1]
	v_pk_mov_b32 v[28:29], v[52:53], v[52:53] op_sel:[0,1]
	v_pk_mov_b32 v[26:27], v[50:51], v[50:51] op_sel:[0,1]
	v_pk_mov_b32 v[52:53], v[132:133], v[132:133] op_sel:[0,1]
	v_pk_mov_b32 v[50:51], v[130:131], v[130:131] op_sel:[0,1]
	s_branch .LBB55_1
.LBB55_5:
	v_mov_b32_e32 v1, s3
	v_add_co_u32_e32 v0, vcc, s2, v134
	v_addc_co_u32_e32 v1, vcc, v1, v135, vcc
	global_store_dwordx4 v[0:1], v[130:133], off
	global_store_dwordx4 v[0:1], v[50:53], off offset:16
	global_store_dwordx4 v[0:1], v[26:29], off offset:32
	global_store_dwordx4 v[0:1], v[10:13], off offset:48
	global_store_dwordx4 v[0:1], v[2:5], off offset:64
	global_store_dwordx4 v[0:1], v[66:69], off offset:80
	global_store_dwordx4 v[0:1], v[38:41], off offset:96
	global_store_dwordx4 v[0:1], v[18:21], off offset:112
	global_store_dwordx4 v[0:1], v[6:9], off offset:128
	global_store_dwordx4 v[0:1], v[78:81], off offset:144
	global_store_dwordx4 v[0:1], v[54:57], off offset:160
	global_store_dwordx4 v[0:1], v[30:33], off offset:176
	global_store_dwordx4 v[0:1], v[14:17], off offset:192
	global_store_dwordx4 v[0:1], v[90:93], off offset:208
	global_store_dwordx4 v[0:1], v[70:73], off offset:224
	global_store_dwordx4 v[0:1], v[42:45], off offset:240
	global_store_dwordx4 v[0:1], v[22:25], off offset:256
	global_store_dwordx4 v[0:1], v[102:105], off offset:272
	global_store_dwordx4 v[0:1], v[82:85], off offset:288
	global_store_dwordx4 v[0:1], v[58:61], off offset:304
	global_store_dwordx4 v[0:1], v[34:37], off offset:320
	global_store_dwordx4 v[0:1], v[110:113], off offset:336
	global_store_dwordx4 v[0:1], v[94:97], off offset:352
	global_store_dwordx4 v[0:1], v[74:77], off offset:368
	global_store_dwordx4 v[0:1], v[46:49], off offset:384
	global_store_dwordx4 v[0:1], v[118:121], off offset:400
	global_store_dwordx4 v[0:1], v[106:109], off offset:416
	global_store_dwordx4 v[0:1], v[86:89], off offset:432
	global_store_dwordx4 v[0:1], v[62:65], off offset:448
	s_waitcnt vmcnt(29)
	global_store_dwordx4 v[0:1], v[122:125], off offset:464
	global_store_dwordx4 v[0:1], v[114:117], off offset:480
	;; [unrolled: 1-line block ×3, first 2 shown]
	s_endpgm
	.section	.rodata,"a",@progbits
	.p2align	6, 0x0
	.amdhsa_kernel _Z6kernelI2upN15benchmark_utils11custom_typeIddEELj256ELj32ELj100EEvPKT0_PS4_
		.amdhsa_group_segment_fixed_size 4096
		.amdhsa_private_segment_fixed_size 0
		.amdhsa_kernarg_size 16
		.amdhsa_user_sgpr_count 6
		.amdhsa_user_sgpr_private_segment_buffer 1
		.amdhsa_user_sgpr_dispatch_ptr 0
		.amdhsa_user_sgpr_queue_ptr 0
		.amdhsa_user_sgpr_kernarg_segment_ptr 1
		.amdhsa_user_sgpr_dispatch_id 0
		.amdhsa_user_sgpr_flat_scratch_init 0
		.amdhsa_user_sgpr_kernarg_preload_length 0
		.amdhsa_user_sgpr_kernarg_preload_offset 0
		.amdhsa_user_sgpr_private_segment_size 0
		.amdhsa_uses_dynamic_stack 0
		.amdhsa_system_sgpr_private_segment_wavefront_offset 0
		.amdhsa_system_sgpr_workgroup_id_x 1
		.amdhsa_system_sgpr_workgroup_id_y 0
		.amdhsa_system_sgpr_workgroup_id_z 0
		.amdhsa_system_sgpr_workgroup_info 0
		.amdhsa_system_vgpr_workitem_id 0
		.amdhsa_next_free_vgpr 136
		.amdhsa_next_free_sgpr 7
		.amdhsa_accum_offset 136
		.amdhsa_reserve_vcc 1
		.amdhsa_reserve_flat_scratch 0
		.amdhsa_float_round_mode_32 0
		.amdhsa_float_round_mode_16_64 0
		.amdhsa_float_denorm_mode_32 3
		.amdhsa_float_denorm_mode_16_64 3
		.amdhsa_dx10_clamp 1
		.amdhsa_ieee_mode 1
		.amdhsa_fp16_overflow 0
		.amdhsa_tg_split 0
		.amdhsa_exception_fp_ieee_invalid_op 0
		.amdhsa_exception_fp_denorm_src 0
		.amdhsa_exception_fp_ieee_div_zero 0
		.amdhsa_exception_fp_ieee_overflow 0
		.amdhsa_exception_fp_ieee_underflow 0
		.amdhsa_exception_fp_ieee_inexact 0
		.amdhsa_exception_int_div_zero 0
	.end_amdhsa_kernel
	.section	.text._Z6kernelI2upN15benchmark_utils11custom_typeIddEELj256ELj32ELj100EEvPKT0_PS4_,"axG",@progbits,_Z6kernelI2upN15benchmark_utils11custom_typeIddEELj256ELj32ELj100EEvPKT0_PS4_,comdat
.Lfunc_end55:
	.size	_Z6kernelI2upN15benchmark_utils11custom_typeIddEELj256ELj32ELj100EEvPKT0_PS4_, .Lfunc_end55-_Z6kernelI2upN15benchmark_utils11custom_typeIddEELj256ELj32ELj100EEvPKT0_PS4_
                                        ; -- End function
	.section	.AMDGPU.csdata,"",@progbits
; Kernel info:
; codeLenInByte = 1208
; NumSgprs: 11
; NumVgprs: 136
; NumAgprs: 0
; TotalNumVgprs: 136
; ScratchSize: 0
; MemoryBound: 1
; FloatMode: 240
; IeeeMode: 1
; LDSByteSize: 4096 bytes/workgroup (compile time only)
; SGPRBlocks: 1
; VGPRBlocks: 16
; NumSGPRsForWavesPerEU: 11
; NumVGPRsForWavesPerEU: 136
; AccumOffset: 136
; Occupancy: 3
; WaveLimiterHint : 0
; COMPUTE_PGM_RSRC2:SCRATCH_EN: 0
; COMPUTE_PGM_RSRC2:USER_SGPR: 6
; COMPUTE_PGM_RSRC2:TRAP_HANDLER: 0
; COMPUTE_PGM_RSRC2:TGID_X_EN: 1
; COMPUTE_PGM_RSRC2:TGID_Y_EN: 0
; COMPUTE_PGM_RSRC2:TGID_Z_EN: 0
; COMPUTE_PGM_RSRC2:TIDIG_COMP_CNT: 0
; COMPUTE_PGM_RSRC3_GFX90A:ACCUM_OFFSET: 33
; COMPUTE_PGM_RSRC3_GFX90A:TG_SPLIT: 0
	.section	.text._Z6kernelI4downiLj256ELj1ELj100EEvPKT0_PS1_,"axG",@progbits,_Z6kernelI4downiLj256ELj1ELj100EEvPKT0_PS1_,comdat
	.protected	_Z6kernelI4downiLj256ELj1ELj100EEvPKT0_PS1_ ; -- Begin function _Z6kernelI4downiLj256ELj1ELj100EEvPKT0_PS1_
	.globl	_Z6kernelI4downiLj256ELj1ELj100EEvPKT0_PS1_
	.p2align	8
	.type	_Z6kernelI4downiLj256ELj1ELj100EEvPKT0_PS1_,@function
_Z6kernelI4downiLj256ELj1ELj100EEvPKT0_PS1_: ; @_Z6kernelI4downiLj256ELj1ELj100EEvPKT0_PS1_
; %bb.0:
	s_load_dwordx4 s[0:3], s[4:5], 0x0
	v_lshl_or_b32 v2, s6, 8, v0
	v_mov_b32_e32 v3, 0
	v_lshlrev_b64 v[2:3], 2, v[2:3]
	s_movk_i32 s4, 0x64
	s_waitcnt lgkmcnt(0)
	v_mov_b32_e32 v1, s1
	v_add_co_u32_e32 v4, vcc, s0, v2
	v_addc_co_u32_e32 v5, vcc, v1, v3, vcc
	global_load_dword v1, v[4:5], off
	s_movk_i32 s0, 0xff
	v_lshlrev_b32_e32 v4, 2, v0
	v_cmp_gt_u32_e32 vcc, s0, v0
	s_branch .LBB56_2
.LBB56_1:                               ;   in Loop: Header=BB56_2 Depth=1
	s_or_b64 exec, exec, s[0:1]
	s_add_i32 s4, s4, -1
	s_cmp_lg_u32 s4, 0
	s_waitcnt lgkmcnt(0)
	s_barrier
	s_cbranch_scc0 .LBB56_4
.LBB56_2:                               ; =>This Inner Loop Header: Depth=1
	s_waitcnt vmcnt(0)
	ds_write_b32 v4, v1
	s_waitcnt lgkmcnt(0)
	s_barrier
	s_and_saveexec_b64 s[0:1], vcc
	s_cbranch_execz .LBB56_1
; %bb.3:                                ;   in Loop: Header=BB56_2 Depth=1
	ds_read_b32 v1, v4 offset:4
	s_branch .LBB56_1
.LBB56_4:
	v_mov_b32_e32 v0, s3
	v_add_co_u32_e32 v2, vcc, s2, v2
	v_addc_co_u32_e32 v3, vcc, v0, v3, vcc
	global_store_dword v[2:3], v1, off
	s_endpgm
	.section	.rodata,"a",@progbits
	.p2align	6, 0x0
	.amdhsa_kernel _Z6kernelI4downiLj256ELj1ELj100EEvPKT0_PS1_
		.amdhsa_group_segment_fixed_size 1024
		.amdhsa_private_segment_fixed_size 0
		.amdhsa_kernarg_size 16
		.amdhsa_user_sgpr_count 6
		.amdhsa_user_sgpr_private_segment_buffer 1
		.amdhsa_user_sgpr_dispatch_ptr 0
		.amdhsa_user_sgpr_queue_ptr 0
		.amdhsa_user_sgpr_kernarg_segment_ptr 1
		.amdhsa_user_sgpr_dispatch_id 0
		.amdhsa_user_sgpr_flat_scratch_init 0
		.amdhsa_user_sgpr_kernarg_preload_length 0
		.amdhsa_user_sgpr_kernarg_preload_offset 0
		.amdhsa_user_sgpr_private_segment_size 0
		.amdhsa_uses_dynamic_stack 0
		.amdhsa_system_sgpr_private_segment_wavefront_offset 0
		.amdhsa_system_sgpr_workgroup_id_x 1
		.amdhsa_system_sgpr_workgroup_id_y 0
		.amdhsa_system_sgpr_workgroup_id_z 0
		.amdhsa_system_sgpr_workgroup_info 0
		.amdhsa_system_vgpr_workitem_id 0
		.amdhsa_next_free_vgpr 6
		.amdhsa_next_free_sgpr 7
		.amdhsa_accum_offset 8
		.amdhsa_reserve_vcc 1
		.amdhsa_reserve_flat_scratch 0
		.amdhsa_float_round_mode_32 0
		.amdhsa_float_round_mode_16_64 0
		.amdhsa_float_denorm_mode_32 3
		.amdhsa_float_denorm_mode_16_64 3
		.amdhsa_dx10_clamp 1
		.amdhsa_ieee_mode 1
		.amdhsa_fp16_overflow 0
		.amdhsa_tg_split 0
		.amdhsa_exception_fp_ieee_invalid_op 0
		.amdhsa_exception_fp_denorm_src 0
		.amdhsa_exception_fp_ieee_div_zero 0
		.amdhsa_exception_fp_ieee_overflow 0
		.amdhsa_exception_fp_ieee_underflow 0
		.amdhsa_exception_fp_ieee_inexact 0
		.amdhsa_exception_int_div_zero 0
	.end_amdhsa_kernel
	.section	.text._Z6kernelI4downiLj256ELj1ELj100EEvPKT0_PS1_,"axG",@progbits,_Z6kernelI4downiLj256ELj1ELj100EEvPKT0_PS1_,comdat
.Lfunc_end56:
	.size	_Z6kernelI4downiLj256ELj1ELj100EEvPKT0_PS1_, .Lfunc_end56-_Z6kernelI4downiLj256ELj1ELj100EEvPKT0_PS1_
                                        ; -- End function
	.section	.AMDGPU.csdata,"",@progbits
; Kernel info:
; codeLenInByte = 160
; NumSgprs: 11
; NumVgprs: 6
; NumAgprs: 0
; TotalNumVgprs: 6
; ScratchSize: 0
; MemoryBound: 0
; FloatMode: 240
; IeeeMode: 1
; LDSByteSize: 1024 bytes/workgroup (compile time only)
; SGPRBlocks: 1
; VGPRBlocks: 0
; NumSGPRsForWavesPerEU: 11
; NumVGPRsForWavesPerEU: 6
; AccumOffset: 8
; Occupancy: 8
; WaveLimiterHint : 0
; COMPUTE_PGM_RSRC2:SCRATCH_EN: 0
; COMPUTE_PGM_RSRC2:USER_SGPR: 6
; COMPUTE_PGM_RSRC2:TRAP_HANDLER: 0
; COMPUTE_PGM_RSRC2:TGID_X_EN: 1
; COMPUTE_PGM_RSRC2:TGID_Y_EN: 0
; COMPUTE_PGM_RSRC2:TGID_Z_EN: 0
; COMPUTE_PGM_RSRC2:TIDIG_COMP_CNT: 0
; COMPUTE_PGM_RSRC3_GFX90A:ACCUM_OFFSET: 1
; COMPUTE_PGM_RSRC3_GFX90A:TG_SPLIT: 0
	.section	.text._Z6kernelI4downiLj256ELj3ELj100EEvPKT0_PS1_,"axG",@progbits,_Z6kernelI4downiLj256ELj3ELj100EEvPKT0_PS1_,comdat
	.protected	_Z6kernelI4downiLj256ELj3ELj100EEvPKT0_PS1_ ; -- Begin function _Z6kernelI4downiLj256ELj3ELj100EEvPKT0_PS1_
	.globl	_Z6kernelI4downiLj256ELj3ELj100EEvPKT0_PS1_
	.p2align	8
	.type	_Z6kernelI4downiLj256ELj3ELj100EEvPKT0_PS1_,@function
_Z6kernelI4downiLj256ELj3ELj100EEvPKT0_PS1_: ; @_Z6kernelI4downiLj256ELj3ELj100EEvPKT0_PS1_
; %bb.0:
	s_load_dwordx4 s[0:3], s[4:5], 0x0
	v_lshl_or_b32 v1, s6, 8, v0
	v_lshl_add_u32 v6, v1, 1, v1
	v_mov_b32_e32 v7, 0
	v_lshlrev_b64 v[2:3], 2, v[6:7]
	s_waitcnt lgkmcnt(0)
	v_mov_b32_e32 v1, s1
	v_add_co_u32_e32 v12, vcc, s0, v2
	v_add_u32_e32 v4, 1, v6
	v_mov_b32_e32 v5, v7
	v_addc_co_u32_e32 v13, vcc, v1, v3, vcc
	v_lshlrev_b64 v[4:5], 2, v[4:5]
	v_add_co_u32_e32 v14, vcc, s0, v4
	v_add_u32_e32 v6, 2, v6
	v_addc_co_u32_e32 v15, vcc, v1, v5, vcc
	v_lshlrev_b64 v[6:7], 2, v[6:7]
	v_add_co_u32_e32 v16, vcc, s0, v6
	v_addc_co_u32_e32 v17, vcc, v1, v7, vcc
	global_load_dword v1, v[16:17], off
	global_load_dword v10, v[12:13], off
	;; [unrolled: 1-line block ×3, first 2 shown]
	s_movk_i32 s0, 0xff
	v_lshlrev_b32_e32 v9, 2, v0
	v_cmp_gt_u32_e32 vcc, s0, v0
	s_movk_i32 s4, 0x64
	s_waitcnt vmcnt(2)
	v_mov_b32_e32 v0, v1
.LBB57_1:                               ; =>This Inner Loop Header: Depth=1
	s_waitcnt vmcnt(1)
	ds_write_b32 v9, v10
	s_waitcnt lgkmcnt(0)
	s_barrier
	s_and_saveexec_b64 s[0:1], vcc
	s_cbranch_execz .LBB57_3
; %bb.2:                                ;   in Loop: Header=BB57_1 Depth=1
	ds_read_b32 v0, v9 offset:4
.LBB57_3:                               ;   in Loop: Header=BB57_1 Depth=1
	s_or_b64 exec, exec, s[0:1]
	s_add_i32 s4, s4, -1
	s_cmp_lg_u32 s4, 0
	s_waitcnt lgkmcnt(0)
	s_barrier
	s_cbranch_scc0 .LBB57_5
; %bb.4:                                ;   in Loop: Header=BB57_1 Depth=1
	s_waitcnt vmcnt(0)
	v_mov_b32_e32 v10, v8
	v_mov_b32_e32 v8, v1
	;; [unrolled: 1-line block ×3, first 2 shown]
	s_branch .LBB57_1
.LBB57_5:
	v_mov_b32_e32 v9, s3
	v_add_co_u32_e32 v2, vcc, s2, v2
	v_addc_co_u32_e32 v3, vcc, v9, v3, vcc
	s_waitcnt vmcnt(0)
	global_store_dword v[2:3], v8, off
	v_mov_b32_e32 v3, s3
	v_add_co_u32_e32 v2, vcc, s2, v4
	v_addc_co_u32_e32 v3, vcc, v3, v5, vcc
	global_store_dword v[2:3], v1, off
	v_mov_b32_e32 v1, s3
	v_add_co_u32_e32 v2, vcc, s2, v6
	v_addc_co_u32_e32 v3, vcc, v1, v7, vcc
	global_store_dword v[2:3], v0, off
	s_endpgm
	.section	.rodata,"a",@progbits
	.p2align	6, 0x0
	.amdhsa_kernel _Z6kernelI4downiLj256ELj3ELj100EEvPKT0_PS1_
		.amdhsa_group_segment_fixed_size 1024
		.amdhsa_private_segment_fixed_size 0
		.amdhsa_kernarg_size 16
		.amdhsa_user_sgpr_count 6
		.amdhsa_user_sgpr_private_segment_buffer 1
		.amdhsa_user_sgpr_dispatch_ptr 0
		.amdhsa_user_sgpr_queue_ptr 0
		.amdhsa_user_sgpr_kernarg_segment_ptr 1
		.amdhsa_user_sgpr_dispatch_id 0
		.amdhsa_user_sgpr_flat_scratch_init 0
		.amdhsa_user_sgpr_kernarg_preload_length 0
		.amdhsa_user_sgpr_kernarg_preload_offset 0
		.amdhsa_user_sgpr_private_segment_size 0
		.amdhsa_uses_dynamic_stack 0
		.amdhsa_system_sgpr_private_segment_wavefront_offset 0
		.amdhsa_system_sgpr_workgroup_id_x 1
		.amdhsa_system_sgpr_workgroup_id_y 0
		.amdhsa_system_sgpr_workgroup_id_z 0
		.amdhsa_system_sgpr_workgroup_info 0
		.amdhsa_system_vgpr_workitem_id 0
		.amdhsa_next_free_vgpr 18
		.amdhsa_next_free_sgpr 7
		.amdhsa_accum_offset 20
		.amdhsa_reserve_vcc 1
		.amdhsa_reserve_flat_scratch 0
		.amdhsa_float_round_mode_32 0
		.amdhsa_float_round_mode_16_64 0
		.amdhsa_float_denorm_mode_32 3
		.amdhsa_float_denorm_mode_16_64 3
		.amdhsa_dx10_clamp 1
		.amdhsa_ieee_mode 1
		.amdhsa_fp16_overflow 0
		.amdhsa_tg_split 0
		.amdhsa_exception_fp_ieee_invalid_op 0
		.amdhsa_exception_fp_denorm_src 0
		.amdhsa_exception_fp_ieee_div_zero 0
		.amdhsa_exception_fp_ieee_overflow 0
		.amdhsa_exception_fp_ieee_underflow 0
		.amdhsa_exception_fp_ieee_inexact 0
		.amdhsa_exception_int_div_zero 0
	.end_amdhsa_kernel
	.section	.text._Z6kernelI4downiLj256ELj3ELj100EEvPKT0_PS1_,"axG",@progbits,_Z6kernelI4downiLj256ELj3ELj100EEvPKT0_PS1_,comdat
.Lfunc_end57:
	.size	_Z6kernelI4downiLj256ELj3ELj100EEvPKT0_PS1_, .Lfunc_end57-_Z6kernelI4downiLj256ELj3ELj100EEvPKT0_PS1_
                                        ; -- End function
	.section	.AMDGPU.csdata,"",@progbits
; Kernel info:
; codeLenInByte = 292
; NumSgprs: 11
; NumVgprs: 18
; NumAgprs: 0
; TotalNumVgprs: 18
; ScratchSize: 0
; MemoryBound: 0
; FloatMode: 240
; IeeeMode: 1
; LDSByteSize: 1024 bytes/workgroup (compile time only)
; SGPRBlocks: 1
; VGPRBlocks: 2
; NumSGPRsForWavesPerEU: 11
; NumVGPRsForWavesPerEU: 18
; AccumOffset: 20
; Occupancy: 8
; WaveLimiterHint : 0
; COMPUTE_PGM_RSRC2:SCRATCH_EN: 0
; COMPUTE_PGM_RSRC2:USER_SGPR: 6
; COMPUTE_PGM_RSRC2:TRAP_HANDLER: 0
; COMPUTE_PGM_RSRC2:TGID_X_EN: 1
; COMPUTE_PGM_RSRC2:TGID_Y_EN: 0
; COMPUTE_PGM_RSRC2:TGID_Z_EN: 0
; COMPUTE_PGM_RSRC2:TIDIG_COMP_CNT: 0
; COMPUTE_PGM_RSRC3_GFX90A:ACCUM_OFFSET: 4
; COMPUTE_PGM_RSRC3_GFX90A:TG_SPLIT: 0
	.section	.text._Z6kernelI4downiLj256ELj4ELj100EEvPKT0_PS1_,"axG",@progbits,_Z6kernelI4downiLj256ELj4ELj100EEvPKT0_PS1_,comdat
	.protected	_Z6kernelI4downiLj256ELj4ELj100EEvPKT0_PS1_ ; -- Begin function _Z6kernelI4downiLj256ELj4ELj100EEvPKT0_PS1_
	.globl	_Z6kernelI4downiLj256ELj4ELj100EEvPKT0_PS1_
	.p2align	8
	.type	_Z6kernelI4downiLj256ELj4ELj100EEvPKT0_PS1_,@function
_Z6kernelI4downiLj256ELj4ELj100EEvPKT0_PS1_: ; @_Z6kernelI4downiLj256ELj4ELj100EEvPKT0_PS1_
; %bb.0:
	s_load_dwordx4 s[0:3], s[4:5], 0x0
	v_lshlrev_b32_e32 v1, 2, v0
	v_lshl_or_b32 v2, s6, 10, v1
	v_mov_b32_e32 v3, 0
	v_lshlrev_b64 v[10:11], 2, v[2:3]
	s_waitcnt lgkmcnt(0)
	v_mov_b32_e32 v3, s1
	v_add_co_u32_e32 v2, vcc, s0, v10
	v_addc_co_u32_e32 v3, vcc, v3, v11, vcc
	global_load_dwordx4 v[2:5], v[2:3], off
	s_movk_i32 s0, 0xff
	v_cmp_gt_u32_e32 vcc, s0, v0
	s_movk_i32 s4, 0x64
.LBB58_1:                               ; =>This Inner Loop Header: Depth=1
	s_waitcnt vmcnt(0)
	v_mov_b32_e32 v9, v5
	ds_write_b32 v1, v2
	s_waitcnt lgkmcnt(0)
	s_barrier
	s_and_saveexec_b64 s[0:1], vcc
	s_cbranch_execz .LBB58_3
; %bb.2:                                ;   in Loop: Header=BB58_1 Depth=1
	ds_read_b32 v9, v1 offset:4
.LBB58_3:                               ;   in Loop: Header=BB58_1 Depth=1
	s_or_b64 exec, exec, s[0:1]
	s_add_i32 s4, s4, -1
	s_cmp_lg_u32 s4, 0
	s_waitcnt lgkmcnt(0)
	s_barrier
	s_cbranch_scc0 .LBB58_5
; %bb.4:                                ;   in Loop: Header=BB58_1 Depth=1
	v_mov_b32_e32 v2, v3
	v_mov_b32_e32 v3, v4
	;; [unrolled: 1-line block ×4, first 2 shown]
	s_branch .LBB58_1
.LBB58_5:
	v_mov_b32_e32 v1, s3
	v_add_co_u32_e32 v0, vcc, s2, v10
	v_mov_b32_e32 v6, v3
	v_mov_b32_e32 v7, v4
	;; [unrolled: 1-line block ×3, first 2 shown]
	v_addc_co_u32_e32 v1, vcc, v1, v11, vcc
	global_store_dwordx4 v[0:1], v[6:9], off
	s_endpgm
	.section	.rodata,"a",@progbits
	.p2align	6, 0x0
	.amdhsa_kernel _Z6kernelI4downiLj256ELj4ELj100EEvPKT0_PS1_
		.amdhsa_group_segment_fixed_size 1024
		.amdhsa_private_segment_fixed_size 0
		.amdhsa_kernarg_size 16
		.amdhsa_user_sgpr_count 6
		.amdhsa_user_sgpr_private_segment_buffer 1
		.amdhsa_user_sgpr_dispatch_ptr 0
		.amdhsa_user_sgpr_queue_ptr 0
		.amdhsa_user_sgpr_kernarg_segment_ptr 1
		.amdhsa_user_sgpr_dispatch_id 0
		.amdhsa_user_sgpr_flat_scratch_init 0
		.amdhsa_user_sgpr_kernarg_preload_length 0
		.amdhsa_user_sgpr_kernarg_preload_offset 0
		.amdhsa_user_sgpr_private_segment_size 0
		.amdhsa_uses_dynamic_stack 0
		.amdhsa_system_sgpr_private_segment_wavefront_offset 0
		.amdhsa_system_sgpr_workgroup_id_x 1
		.amdhsa_system_sgpr_workgroup_id_y 0
		.amdhsa_system_sgpr_workgroup_id_z 0
		.amdhsa_system_sgpr_workgroup_info 0
		.amdhsa_system_vgpr_workitem_id 0
		.amdhsa_next_free_vgpr 12
		.amdhsa_next_free_sgpr 7
		.amdhsa_accum_offset 12
		.amdhsa_reserve_vcc 1
		.amdhsa_reserve_flat_scratch 0
		.amdhsa_float_round_mode_32 0
		.amdhsa_float_round_mode_16_64 0
		.amdhsa_float_denorm_mode_32 3
		.amdhsa_float_denorm_mode_16_64 3
		.amdhsa_dx10_clamp 1
		.amdhsa_ieee_mode 1
		.amdhsa_fp16_overflow 0
		.amdhsa_tg_split 0
		.amdhsa_exception_fp_ieee_invalid_op 0
		.amdhsa_exception_fp_denorm_src 0
		.amdhsa_exception_fp_ieee_div_zero 0
		.amdhsa_exception_fp_ieee_overflow 0
		.amdhsa_exception_fp_ieee_underflow 0
		.amdhsa_exception_fp_ieee_inexact 0
		.amdhsa_exception_int_div_zero 0
	.end_amdhsa_kernel
	.section	.text._Z6kernelI4downiLj256ELj4ELj100EEvPKT0_PS1_,"axG",@progbits,_Z6kernelI4downiLj256ELj4ELj100EEvPKT0_PS1_,comdat
.Lfunc_end58:
	.size	_Z6kernelI4downiLj256ELj4ELj100EEvPKT0_PS1_, .Lfunc_end58-_Z6kernelI4downiLj256ELj4ELj100EEvPKT0_PS1_
                                        ; -- End function
	.section	.AMDGPU.csdata,"",@progbits
; Kernel info:
; codeLenInByte = 188
; NumSgprs: 11
; NumVgprs: 12
; NumAgprs: 0
; TotalNumVgprs: 12
; ScratchSize: 0
; MemoryBound: 0
; FloatMode: 240
; IeeeMode: 1
; LDSByteSize: 1024 bytes/workgroup (compile time only)
; SGPRBlocks: 1
; VGPRBlocks: 1
; NumSGPRsForWavesPerEU: 11
; NumVGPRsForWavesPerEU: 12
; AccumOffset: 12
; Occupancy: 8
; WaveLimiterHint : 0
; COMPUTE_PGM_RSRC2:SCRATCH_EN: 0
; COMPUTE_PGM_RSRC2:USER_SGPR: 6
; COMPUTE_PGM_RSRC2:TRAP_HANDLER: 0
; COMPUTE_PGM_RSRC2:TGID_X_EN: 1
; COMPUTE_PGM_RSRC2:TGID_Y_EN: 0
; COMPUTE_PGM_RSRC2:TGID_Z_EN: 0
; COMPUTE_PGM_RSRC2:TIDIG_COMP_CNT: 0
; COMPUTE_PGM_RSRC3_GFX90A:ACCUM_OFFSET: 2
; COMPUTE_PGM_RSRC3_GFX90A:TG_SPLIT: 0
	.section	.text._Z6kernelI4downiLj256ELj8ELj100EEvPKT0_PS1_,"axG",@progbits,_Z6kernelI4downiLj256ELj8ELj100EEvPKT0_PS1_,comdat
	.protected	_Z6kernelI4downiLj256ELj8ELj100EEvPKT0_PS1_ ; -- Begin function _Z6kernelI4downiLj256ELj8ELj100EEvPKT0_PS1_
	.globl	_Z6kernelI4downiLj256ELj8ELj100EEvPKT0_PS1_
	.p2align	8
	.type	_Z6kernelI4downiLj256ELj8ELj100EEvPKT0_PS1_,@function
_Z6kernelI4downiLj256ELj8ELj100EEvPKT0_PS1_: ; @_Z6kernelI4downiLj256ELj8ELj100EEvPKT0_PS1_
; %bb.0:
	s_load_dwordx4 s[0:3], s[4:5], 0x0
	v_lshlrev_b32_e32 v1, 3, v0
	v_lshl_or_b32 v2, s6, 11, v1
	v_mov_b32_e32 v3, 0
	v_lshlrev_b64 v[10:11], 2, v[2:3]
	s_waitcnt lgkmcnt(0)
	v_mov_b32_e32 v1, s1
	v_add_co_u32_e32 v12, vcc, s0, v10
	v_addc_co_u32_e32 v13, vcc, v1, v11, vcc
	global_load_dwordx4 v[2:5], v[12:13], off
	global_load_dwordx4 v[6:9], v[12:13], off offset:16
	s_movk_i32 s0, 0xff
	v_lshlrev_b32_e32 v1, 2, v0
	v_cmp_gt_u32_e32 vcc, s0, v0
	s_movk_i32 s4, 0x64
.LBB59_1:                               ; =>This Inner Loop Header: Depth=1
	s_waitcnt vmcnt(0)
	v_mov_b32_e32 v13, v9
	ds_write_b32 v1, v2
	s_waitcnt lgkmcnt(0)
	s_barrier
	s_and_saveexec_b64 s[0:1], vcc
	s_cbranch_execz .LBB59_3
; %bb.2:                                ;   in Loop: Header=BB59_1 Depth=1
	ds_read_b32 v13, v1 offset:4
.LBB59_3:                               ;   in Loop: Header=BB59_1 Depth=1
	s_or_b64 exec, exec, s[0:1]
	s_add_i32 s4, s4, -1
	s_cmp_lg_u32 s4, 0
	s_waitcnt lgkmcnt(0)
	s_barrier
	s_cbranch_scc0 .LBB59_5
; %bb.4:                                ;   in Loop: Header=BB59_1 Depth=1
	v_mov_b32_e32 v2, v3
	v_mov_b32_e32 v3, v4
	;; [unrolled: 1-line block ×8, first 2 shown]
	s_branch .LBB59_1
.LBB59_5:
	v_mov_b32_e32 v0, s3
	v_add_co_u32_e32 v14, vcc, s2, v10
	v_addc_co_u32_e32 v15, vcc, v0, v11, vcc
	v_mov_b32_e32 v0, v3
	v_mov_b32_e32 v1, v4
	;; [unrolled: 1-line block ×7, first 2 shown]
	global_store_dwordx4 v[14:15], v[0:3], off
	global_store_dwordx4 v[14:15], v[10:13], off offset:16
	s_endpgm
	.section	.rodata,"a",@progbits
	.p2align	6, 0x0
	.amdhsa_kernel _Z6kernelI4downiLj256ELj8ELj100EEvPKT0_PS1_
		.amdhsa_group_segment_fixed_size 1024
		.amdhsa_private_segment_fixed_size 0
		.amdhsa_kernarg_size 16
		.amdhsa_user_sgpr_count 6
		.amdhsa_user_sgpr_private_segment_buffer 1
		.amdhsa_user_sgpr_dispatch_ptr 0
		.amdhsa_user_sgpr_queue_ptr 0
		.amdhsa_user_sgpr_kernarg_segment_ptr 1
		.amdhsa_user_sgpr_dispatch_id 0
		.amdhsa_user_sgpr_flat_scratch_init 0
		.amdhsa_user_sgpr_kernarg_preload_length 0
		.amdhsa_user_sgpr_kernarg_preload_offset 0
		.amdhsa_user_sgpr_private_segment_size 0
		.amdhsa_uses_dynamic_stack 0
		.amdhsa_system_sgpr_private_segment_wavefront_offset 0
		.amdhsa_system_sgpr_workgroup_id_x 1
		.amdhsa_system_sgpr_workgroup_id_y 0
		.amdhsa_system_sgpr_workgroup_id_z 0
		.amdhsa_system_sgpr_workgroup_info 0
		.amdhsa_system_vgpr_workitem_id 0
		.amdhsa_next_free_vgpr 16
		.amdhsa_next_free_sgpr 7
		.amdhsa_accum_offset 16
		.amdhsa_reserve_vcc 1
		.amdhsa_reserve_flat_scratch 0
		.amdhsa_float_round_mode_32 0
		.amdhsa_float_round_mode_16_64 0
		.amdhsa_float_denorm_mode_32 3
		.amdhsa_float_denorm_mode_16_64 3
		.amdhsa_dx10_clamp 1
		.amdhsa_ieee_mode 1
		.amdhsa_fp16_overflow 0
		.amdhsa_tg_split 0
		.amdhsa_exception_fp_ieee_invalid_op 0
		.amdhsa_exception_fp_denorm_src 0
		.amdhsa_exception_fp_ieee_div_zero 0
		.amdhsa_exception_fp_ieee_overflow 0
		.amdhsa_exception_fp_ieee_underflow 0
		.amdhsa_exception_fp_ieee_inexact 0
		.amdhsa_exception_int_div_zero 0
	.end_amdhsa_kernel
	.section	.text._Z6kernelI4downiLj256ELj8ELj100EEvPKT0_PS1_,"axG",@progbits,_Z6kernelI4downiLj256ELj8ELj100EEvPKT0_PS1_,comdat
.Lfunc_end59:
	.size	_Z6kernelI4downiLj256ELj8ELj100EEvPKT0_PS1_, .Lfunc_end59-_Z6kernelI4downiLj256ELj8ELj100EEvPKT0_PS1_
                                        ; -- End function
	.section	.AMDGPU.csdata,"",@progbits
; Kernel info:
; codeLenInByte = 240
; NumSgprs: 11
; NumVgprs: 16
; NumAgprs: 0
; TotalNumVgprs: 16
; ScratchSize: 0
; MemoryBound: 0
; FloatMode: 240
; IeeeMode: 1
; LDSByteSize: 1024 bytes/workgroup (compile time only)
; SGPRBlocks: 1
; VGPRBlocks: 1
; NumSGPRsForWavesPerEU: 11
; NumVGPRsForWavesPerEU: 16
; AccumOffset: 16
; Occupancy: 8
; WaveLimiterHint : 0
; COMPUTE_PGM_RSRC2:SCRATCH_EN: 0
; COMPUTE_PGM_RSRC2:USER_SGPR: 6
; COMPUTE_PGM_RSRC2:TRAP_HANDLER: 0
; COMPUTE_PGM_RSRC2:TGID_X_EN: 1
; COMPUTE_PGM_RSRC2:TGID_Y_EN: 0
; COMPUTE_PGM_RSRC2:TGID_Z_EN: 0
; COMPUTE_PGM_RSRC2:TIDIG_COMP_CNT: 0
; COMPUTE_PGM_RSRC3_GFX90A:ACCUM_OFFSET: 3
; COMPUTE_PGM_RSRC3_GFX90A:TG_SPLIT: 0
	.section	.text._Z6kernelI4downiLj256ELj16ELj100EEvPKT0_PS1_,"axG",@progbits,_Z6kernelI4downiLj256ELj16ELj100EEvPKT0_PS1_,comdat
	.protected	_Z6kernelI4downiLj256ELj16ELj100EEvPKT0_PS1_ ; -- Begin function _Z6kernelI4downiLj256ELj16ELj100EEvPKT0_PS1_
	.globl	_Z6kernelI4downiLj256ELj16ELj100EEvPKT0_PS1_
	.p2align	8
	.type	_Z6kernelI4downiLj256ELj16ELj100EEvPKT0_PS1_,@function
_Z6kernelI4downiLj256ELj16ELj100EEvPKT0_PS1_: ; @_Z6kernelI4downiLj256ELj16ELj100EEvPKT0_PS1_
; %bb.0:
	s_load_dwordx4 s[0:3], s[4:5], 0x0
	v_lshlrev_b32_e32 v1, 4, v0
	v_lshl_or_b32 v2, s6, 12, v1
	v_mov_b32_e32 v3, 0
	v_lshlrev_b64 v[20:21], 2, v[2:3]
	s_waitcnt lgkmcnt(0)
	v_mov_b32_e32 v1, s1
	v_add_co_u32_e32 v18, vcc, s0, v20
	v_addc_co_u32_e32 v19, vcc, v1, v21, vcc
	global_load_dwordx4 v[6:9], v[18:19], off
	global_load_dwordx4 v[10:13], v[18:19], off offset:16
	global_load_dwordx4 v[2:5], v[18:19], off offset:48
	;; [unrolled: 1-line block ×3, first 2 shown]
	s_movk_i32 s0, 0xff
	v_lshlrev_b32_e32 v1, 2, v0
	v_cmp_gt_u32_e32 vcc, s0, v0
	s_movk_i32 s4, 0x64
.LBB60_1:                               ; =>This Inner Loop Header: Depth=1
	s_waitcnt vmcnt(1)
	v_mov_b32_e32 v18, v5
	ds_write_b32 v1, v6
	s_waitcnt lgkmcnt(0)
	s_barrier
	s_and_saveexec_b64 s[0:1], vcc
	s_cbranch_execz .LBB60_3
; %bb.2:                                ;   in Loop: Header=BB60_1 Depth=1
	ds_read_b32 v5, v1 offset:4
.LBB60_3:                               ;   in Loop: Header=BB60_1 Depth=1
	s_or_b64 exec, exec, s[0:1]
	s_add_i32 s4, s4, -1
	s_cmp_lg_u32 s4, 0
	s_waitcnt lgkmcnt(0)
	s_barrier
	s_cbranch_scc0 .LBB60_5
; %bb.4:                                ;   in Loop: Header=BB60_1 Depth=1
	v_mov_b32_e32 v6, v7
	v_mov_b32_e32 v7, v8
	v_mov_b32_e32 v8, v9
	v_mov_b32_e32 v9, v10
	v_mov_b32_e32 v10, v11
	v_mov_b32_e32 v11, v12
	v_mov_b32_e32 v12, v13
	s_waitcnt vmcnt(0)
	v_mov_b32_e32 v13, v14
	v_mov_b32_e32 v14, v15
	;; [unrolled: 1-line block ×8, first 2 shown]
	s_branch .LBB60_1
.LBB60_5:
	v_mov_b32_e32 v1, s3
	v_add_co_u32_e32 v0, vcc, s2, v20
	v_addc_co_u32_e32 v1, vcc, v1, v21, vcc
	v_mov_b32_e32 v6, v7
	v_mov_b32_e32 v7, v8
	;; [unrolled: 1-line block ×4, first 2 shown]
	global_store_dwordx4 v[0:1], v[6:9], off
	v_mov_b32_e32 v19, v5
	v_mov_b32_e32 v6, v11
	;; [unrolled: 1-line block ×4, first 2 shown]
	s_waitcnt vmcnt(1)
	v_mov_b32_e32 v9, v14
	global_store_dwordx4 v[0:1], v[6:9], off offset:16
	s_nop 0
	v_mov_b32_e32 v6, v15
	v_mov_b32_e32 v7, v16
	;; [unrolled: 1-line block ×6, first 2 shown]
	global_store_dwordx4 v[0:1], v[6:9], off offset:32
	global_store_dwordx4 v[0:1], v[16:19], off offset:48
	s_endpgm
	.section	.rodata,"a",@progbits
	.p2align	6, 0x0
	.amdhsa_kernel _Z6kernelI4downiLj256ELj16ELj100EEvPKT0_PS1_
		.amdhsa_group_segment_fixed_size 1024
		.amdhsa_private_segment_fixed_size 0
		.amdhsa_kernarg_size 16
		.amdhsa_user_sgpr_count 6
		.amdhsa_user_sgpr_private_segment_buffer 1
		.amdhsa_user_sgpr_dispatch_ptr 0
		.amdhsa_user_sgpr_queue_ptr 0
		.amdhsa_user_sgpr_kernarg_segment_ptr 1
		.amdhsa_user_sgpr_dispatch_id 0
		.amdhsa_user_sgpr_flat_scratch_init 0
		.amdhsa_user_sgpr_kernarg_preload_length 0
		.amdhsa_user_sgpr_kernarg_preload_offset 0
		.amdhsa_user_sgpr_private_segment_size 0
		.amdhsa_uses_dynamic_stack 0
		.amdhsa_system_sgpr_private_segment_wavefront_offset 0
		.amdhsa_system_sgpr_workgroup_id_x 1
		.amdhsa_system_sgpr_workgroup_id_y 0
		.amdhsa_system_sgpr_workgroup_id_z 0
		.amdhsa_system_sgpr_workgroup_info 0
		.amdhsa_system_vgpr_workitem_id 0
		.amdhsa_next_free_vgpr 22
		.amdhsa_next_free_sgpr 7
		.amdhsa_accum_offset 24
		.amdhsa_reserve_vcc 1
		.amdhsa_reserve_flat_scratch 0
		.amdhsa_float_round_mode_32 0
		.amdhsa_float_round_mode_16_64 0
		.amdhsa_float_denorm_mode_32 3
		.amdhsa_float_denorm_mode_16_64 3
		.amdhsa_dx10_clamp 1
		.amdhsa_ieee_mode 1
		.amdhsa_fp16_overflow 0
		.amdhsa_tg_split 0
		.amdhsa_exception_fp_ieee_invalid_op 0
		.amdhsa_exception_fp_denorm_src 0
		.amdhsa_exception_fp_ieee_div_zero 0
		.amdhsa_exception_fp_ieee_overflow 0
		.amdhsa_exception_fp_ieee_underflow 0
		.amdhsa_exception_fp_ieee_inexact 0
		.amdhsa_exception_int_div_zero 0
	.end_amdhsa_kernel
	.section	.text._Z6kernelI4downiLj256ELj16ELj100EEvPKT0_PS1_,"axG",@progbits,_Z6kernelI4downiLj256ELj16ELj100EEvPKT0_PS1_,comdat
.Lfunc_end60:
	.size	_Z6kernelI4downiLj256ELj16ELj100EEvPKT0_PS1_, .Lfunc_end60-_Z6kernelI4downiLj256ELj16ELj100EEvPKT0_PS1_
                                        ; -- End function
	.section	.AMDGPU.csdata,"",@progbits
; Kernel info:
; codeLenInByte = 344
; NumSgprs: 11
; NumVgprs: 22
; NumAgprs: 0
; TotalNumVgprs: 22
; ScratchSize: 0
; MemoryBound: 0
; FloatMode: 240
; IeeeMode: 1
; LDSByteSize: 1024 bytes/workgroup (compile time only)
; SGPRBlocks: 1
; VGPRBlocks: 2
; NumSGPRsForWavesPerEU: 11
; NumVGPRsForWavesPerEU: 22
; AccumOffset: 24
; Occupancy: 8
; WaveLimiterHint : 0
; COMPUTE_PGM_RSRC2:SCRATCH_EN: 0
; COMPUTE_PGM_RSRC2:USER_SGPR: 6
; COMPUTE_PGM_RSRC2:TRAP_HANDLER: 0
; COMPUTE_PGM_RSRC2:TGID_X_EN: 1
; COMPUTE_PGM_RSRC2:TGID_Y_EN: 0
; COMPUTE_PGM_RSRC2:TGID_Z_EN: 0
; COMPUTE_PGM_RSRC2:TIDIG_COMP_CNT: 0
; COMPUTE_PGM_RSRC3_GFX90A:ACCUM_OFFSET: 5
; COMPUTE_PGM_RSRC3_GFX90A:TG_SPLIT: 0
	.section	.text._Z6kernelI4downiLj256ELj32ELj100EEvPKT0_PS1_,"axG",@progbits,_Z6kernelI4downiLj256ELj32ELj100EEvPKT0_PS1_,comdat
	.protected	_Z6kernelI4downiLj256ELj32ELj100EEvPKT0_PS1_ ; -- Begin function _Z6kernelI4downiLj256ELj32ELj100EEvPKT0_PS1_
	.globl	_Z6kernelI4downiLj256ELj32ELj100EEvPKT0_PS1_
	.p2align	8
	.type	_Z6kernelI4downiLj256ELj32ELj100EEvPKT0_PS1_,@function
_Z6kernelI4downiLj256ELj32ELj100EEvPKT0_PS1_: ; @_Z6kernelI4downiLj256ELj32ELj100EEvPKT0_PS1_
; %bb.0:
	s_load_dwordx4 s[0:3], s[4:5], 0x0
	v_lshlrev_b32_e32 v1, 5, v0
	v_lshl_or_b32 v2, s6, 13, v1
	v_mov_b32_e32 v3, 0
	v_lshlrev_b64 v[36:37], 2, v[2:3]
	s_waitcnt lgkmcnt(0)
	v_mov_b32_e32 v1, s1
	v_add_co_u32_e32 v38, vcc, s0, v36
	v_addc_co_u32_e32 v39, vcc, v1, v37, vcc
	global_load_dwordx4 v[2:5], v[38:39], off
	global_load_dwordx4 v[6:9], v[38:39], off offset:16
	global_load_dwordx3 v[32:34], v[38:39], off offset:48
	global_load_dwordx4 v[28:31], v[38:39], off offset:32
	global_load_dwordx4 v[10:13], v[38:39], off offset:60
	global_load_dwordx4 v[14:17], v[38:39], off offset:76
	global_load_dwordx4 v[18:21], v[38:39], off offset:92
	global_load_dwordx4 v[22:25], v[38:39], off offset:108
	global_load_dword v27, v[38:39], off offset:124
	s_movk_i32 s0, 0xff
	v_lshlrev_b32_e32 v1, 2, v0
	v_cmp_gt_u32_e32 vcc, s0, v0
	s_movk_i32 s4, 0x64
.LBB61_1:                               ; =>This Inner Loop Header: Depth=1
	s_waitcnt vmcnt(0)
	v_mov_b32_e32 v26, v27
	ds_write_b32 v1, v2
	s_waitcnt lgkmcnt(0)
	s_barrier
	s_and_saveexec_b64 s[0:1], vcc
	s_cbranch_execz .LBB61_3
; %bb.2:                                ;   in Loop: Header=BB61_1 Depth=1
	ds_read_b32 v27, v1 offset:4
.LBB61_3:                               ;   in Loop: Header=BB61_1 Depth=1
	s_or_b64 exec, exec, s[0:1]
	s_add_i32 s4, s4, -1
	s_cmp_lg_u32 s4, 0
	s_waitcnt lgkmcnt(0)
	s_barrier
	s_cbranch_scc0 .LBB61_5
; %bb.4:                                ;   in Loop: Header=BB61_1 Depth=1
	v_mov_b32_e32 v2, v3
	v_mov_b32_e32 v3, v4
	;; [unrolled: 1-line block ×31, first 2 shown]
	s_branch .LBB61_1
.LBB61_5:
	v_mov_b32_e32 v0, s3
	v_add_co_u32_e32 v36, vcc, s2, v36
	v_addc_co_u32_e32 v37, vcc, v0, v37, vcc
	v_mov_b32_e32 v0, v3
	v_mov_b32_e32 v1, v4
	;; [unrolled: 1-line block ×4, first 2 shown]
	global_store_dwordx4 v[36:37], v[0:3], off
	s_nop 0
	v_mov_b32_e32 v0, v7
	v_mov_b32_e32 v1, v8
	v_mov_b32_e32 v2, v9
	v_mov_b32_e32 v3, v28
	global_store_dwordx4 v[36:37], v[0:3], off offset:16
	s_nop 0
	v_mov_b32_e32 v0, v29
	v_mov_b32_e32 v1, v30
	v_mov_b32_e32 v2, v31
	v_mov_b32_e32 v3, v32
	global_store_dwordx4 v[36:37], v[0:3], off offset:32
	;; [unrolled: 6-line block ×6, first 2 shown]
	global_store_dwordx4 v[36:37], v[24:27], off offset:112
	s_endpgm
	.section	.rodata,"a",@progbits
	.p2align	6, 0x0
	.amdhsa_kernel _Z6kernelI4downiLj256ELj32ELj100EEvPKT0_PS1_
		.amdhsa_group_segment_fixed_size 1024
		.amdhsa_private_segment_fixed_size 0
		.amdhsa_kernarg_size 16
		.amdhsa_user_sgpr_count 6
		.amdhsa_user_sgpr_private_segment_buffer 1
		.amdhsa_user_sgpr_dispatch_ptr 0
		.amdhsa_user_sgpr_queue_ptr 0
		.amdhsa_user_sgpr_kernarg_segment_ptr 1
		.amdhsa_user_sgpr_dispatch_id 0
		.amdhsa_user_sgpr_flat_scratch_init 0
		.amdhsa_user_sgpr_kernarg_preload_length 0
		.amdhsa_user_sgpr_kernarg_preload_offset 0
		.amdhsa_user_sgpr_private_segment_size 0
		.amdhsa_uses_dynamic_stack 0
		.amdhsa_system_sgpr_private_segment_wavefront_offset 0
		.amdhsa_system_sgpr_workgroup_id_x 1
		.amdhsa_system_sgpr_workgroup_id_y 0
		.amdhsa_system_sgpr_workgroup_id_z 0
		.amdhsa_system_sgpr_workgroup_info 0
		.amdhsa_system_vgpr_workitem_id 0
		.amdhsa_next_free_vgpr 40
		.amdhsa_next_free_sgpr 7
		.amdhsa_accum_offset 40
		.amdhsa_reserve_vcc 1
		.amdhsa_reserve_flat_scratch 0
		.amdhsa_float_round_mode_32 0
		.amdhsa_float_round_mode_16_64 0
		.amdhsa_float_denorm_mode_32 3
		.amdhsa_float_denorm_mode_16_64 3
		.amdhsa_dx10_clamp 1
		.amdhsa_ieee_mode 1
		.amdhsa_fp16_overflow 0
		.amdhsa_tg_split 0
		.amdhsa_exception_fp_ieee_invalid_op 0
		.amdhsa_exception_fp_denorm_src 0
		.amdhsa_exception_fp_ieee_div_zero 0
		.amdhsa_exception_fp_ieee_overflow 0
		.amdhsa_exception_fp_ieee_underflow 0
		.amdhsa_exception_fp_ieee_inexact 0
		.amdhsa_exception_int_div_zero 0
	.end_amdhsa_kernel
	.section	.text._Z6kernelI4downiLj256ELj32ELj100EEvPKT0_PS1_,"axG",@progbits,_Z6kernelI4downiLj256ELj32ELj100EEvPKT0_PS1_,comdat
.Lfunc_end61:
	.size	_Z6kernelI4downiLj256ELj32ELj100EEvPKT0_PS1_, .Lfunc_end61-_Z6kernelI4downiLj256ELj32ELj100EEvPKT0_PS1_
                                        ; -- End function
	.section	.AMDGPU.csdata,"",@progbits
; Kernel info:
; codeLenInByte = 544
; NumSgprs: 11
; NumVgprs: 40
; NumAgprs: 0
; TotalNumVgprs: 40
; ScratchSize: 0
; MemoryBound: 0
; FloatMode: 240
; IeeeMode: 1
; LDSByteSize: 1024 bytes/workgroup (compile time only)
; SGPRBlocks: 1
; VGPRBlocks: 4
; NumSGPRsForWavesPerEU: 11
; NumVGPRsForWavesPerEU: 40
; AccumOffset: 40
; Occupancy: 8
; WaveLimiterHint : 0
; COMPUTE_PGM_RSRC2:SCRATCH_EN: 0
; COMPUTE_PGM_RSRC2:USER_SGPR: 6
; COMPUTE_PGM_RSRC2:TRAP_HANDLER: 0
; COMPUTE_PGM_RSRC2:TGID_X_EN: 1
; COMPUTE_PGM_RSRC2:TGID_Y_EN: 0
; COMPUTE_PGM_RSRC2:TGID_Z_EN: 0
; COMPUTE_PGM_RSRC2:TIDIG_COMP_CNT: 0
; COMPUTE_PGM_RSRC3_GFX90A:ACCUM_OFFSET: 9
; COMPUTE_PGM_RSRC3_GFX90A:TG_SPLIT: 0
	.section	.text._Z6kernelI4downfLj256ELj1ELj100EEvPKT0_PS1_,"axG",@progbits,_Z6kernelI4downfLj256ELj1ELj100EEvPKT0_PS1_,comdat
	.protected	_Z6kernelI4downfLj256ELj1ELj100EEvPKT0_PS1_ ; -- Begin function _Z6kernelI4downfLj256ELj1ELj100EEvPKT0_PS1_
	.globl	_Z6kernelI4downfLj256ELj1ELj100EEvPKT0_PS1_
	.p2align	8
	.type	_Z6kernelI4downfLj256ELj1ELj100EEvPKT0_PS1_,@function
_Z6kernelI4downfLj256ELj1ELj100EEvPKT0_PS1_: ; @_Z6kernelI4downfLj256ELj1ELj100EEvPKT0_PS1_
; %bb.0:
	s_load_dwordx4 s[0:3], s[4:5], 0x0
	v_lshl_or_b32 v2, s6, 8, v0
	v_mov_b32_e32 v3, 0
	v_lshlrev_b64 v[2:3], 2, v[2:3]
	s_movk_i32 s4, 0x64
	s_waitcnt lgkmcnt(0)
	v_mov_b32_e32 v1, s1
	v_add_co_u32_e32 v4, vcc, s0, v2
	v_addc_co_u32_e32 v5, vcc, v1, v3, vcc
	global_load_dword v1, v[4:5], off
	s_movk_i32 s0, 0xff
	v_lshlrev_b32_e32 v4, 2, v0
	v_cmp_gt_u32_e32 vcc, s0, v0
	s_branch .LBB62_2
.LBB62_1:                               ;   in Loop: Header=BB62_2 Depth=1
	s_or_b64 exec, exec, s[0:1]
	s_add_i32 s4, s4, -1
	s_cmp_lg_u32 s4, 0
	s_waitcnt lgkmcnt(0)
	s_barrier
	s_cbranch_scc0 .LBB62_4
.LBB62_2:                               ; =>This Inner Loop Header: Depth=1
	s_waitcnt vmcnt(0)
	ds_write_b32 v4, v1
	s_waitcnt lgkmcnt(0)
	s_barrier
	s_and_saveexec_b64 s[0:1], vcc
	s_cbranch_execz .LBB62_1
; %bb.3:                                ;   in Loop: Header=BB62_2 Depth=1
	ds_read_b32 v1, v4 offset:4
	s_branch .LBB62_1
.LBB62_4:
	v_mov_b32_e32 v0, s3
	v_add_co_u32_e32 v2, vcc, s2, v2
	v_addc_co_u32_e32 v3, vcc, v0, v3, vcc
	global_store_dword v[2:3], v1, off
	s_endpgm
	.section	.rodata,"a",@progbits
	.p2align	6, 0x0
	.amdhsa_kernel _Z6kernelI4downfLj256ELj1ELj100EEvPKT0_PS1_
		.amdhsa_group_segment_fixed_size 1024
		.amdhsa_private_segment_fixed_size 0
		.amdhsa_kernarg_size 16
		.amdhsa_user_sgpr_count 6
		.amdhsa_user_sgpr_private_segment_buffer 1
		.amdhsa_user_sgpr_dispatch_ptr 0
		.amdhsa_user_sgpr_queue_ptr 0
		.amdhsa_user_sgpr_kernarg_segment_ptr 1
		.amdhsa_user_sgpr_dispatch_id 0
		.amdhsa_user_sgpr_flat_scratch_init 0
		.amdhsa_user_sgpr_kernarg_preload_length 0
		.amdhsa_user_sgpr_kernarg_preload_offset 0
		.amdhsa_user_sgpr_private_segment_size 0
		.amdhsa_uses_dynamic_stack 0
		.amdhsa_system_sgpr_private_segment_wavefront_offset 0
		.amdhsa_system_sgpr_workgroup_id_x 1
		.amdhsa_system_sgpr_workgroup_id_y 0
		.amdhsa_system_sgpr_workgroup_id_z 0
		.amdhsa_system_sgpr_workgroup_info 0
		.amdhsa_system_vgpr_workitem_id 0
		.amdhsa_next_free_vgpr 6
		.amdhsa_next_free_sgpr 7
		.amdhsa_accum_offset 8
		.amdhsa_reserve_vcc 1
		.amdhsa_reserve_flat_scratch 0
		.amdhsa_float_round_mode_32 0
		.amdhsa_float_round_mode_16_64 0
		.amdhsa_float_denorm_mode_32 3
		.amdhsa_float_denorm_mode_16_64 3
		.amdhsa_dx10_clamp 1
		.amdhsa_ieee_mode 1
		.amdhsa_fp16_overflow 0
		.amdhsa_tg_split 0
		.amdhsa_exception_fp_ieee_invalid_op 0
		.amdhsa_exception_fp_denorm_src 0
		.amdhsa_exception_fp_ieee_div_zero 0
		.amdhsa_exception_fp_ieee_overflow 0
		.amdhsa_exception_fp_ieee_underflow 0
		.amdhsa_exception_fp_ieee_inexact 0
		.amdhsa_exception_int_div_zero 0
	.end_amdhsa_kernel
	.section	.text._Z6kernelI4downfLj256ELj1ELj100EEvPKT0_PS1_,"axG",@progbits,_Z6kernelI4downfLj256ELj1ELj100EEvPKT0_PS1_,comdat
.Lfunc_end62:
	.size	_Z6kernelI4downfLj256ELj1ELj100EEvPKT0_PS1_, .Lfunc_end62-_Z6kernelI4downfLj256ELj1ELj100EEvPKT0_PS1_
                                        ; -- End function
	.section	.AMDGPU.csdata,"",@progbits
; Kernel info:
; codeLenInByte = 160
; NumSgprs: 11
; NumVgprs: 6
; NumAgprs: 0
; TotalNumVgprs: 6
; ScratchSize: 0
; MemoryBound: 0
; FloatMode: 240
; IeeeMode: 1
; LDSByteSize: 1024 bytes/workgroup (compile time only)
; SGPRBlocks: 1
; VGPRBlocks: 0
; NumSGPRsForWavesPerEU: 11
; NumVGPRsForWavesPerEU: 6
; AccumOffset: 8
; Occupancy: 8
; WaveLimiterHint : 0
; COMPUTE_PGM_RSRC2:SCRATCH_EN: 0
; COMPUTE_PGM_RSRC2:USER_SGPR: 6
; COMPUTE_PGM_RSRC2:TRAP_HANDLER: 0
; COMPUTE_PGM_RSRC2:TGID_X_EN: 1
; COMPUTE_PGM_RSRC2:TGID_Y_EN: 0
; COMPUTE_PGM_RSRC2:TGID_Z_EN: 0
; COMPUTE_PGM_RSRC2:TIDIG_COMP_CNT: 0
; COMPUTE_PGM_RSRC3_GFX90A:ACCUM_OFFSET: 1
; COMPUTE_PGM_RSRC3_GFX90A:TG_SPLIT: 0
	.section	.text._Z6kernelI4downfLj256ELj3ELj100EEvPKT0_PS1_,"axG",@progbits,_Z6kernelI4downfLj256ELj3ELj100EEvPKT0_PS1_,comdat
	.protected	_Z6kernelI4downfLj256ELj3ELj100EEvPKT0_PS1_ ; -- Begin function _Z6kernelI4downfLj256ELj3ELj100EEvPKT0_PS1_
	.globl	_Z6kernelI4downfLj256ELj3ELj100EEvPKT0_PS1_
	.p2align	8
	.type	_Z6kernelI4downfLj256ELj3ELj100EEvPKT0_PS1_,@function
_Z6kernelI4downfLj256ELj3ELj100EEvPKT0_PS1_: ; @_Z6kernelI4downfLj256ELj3ELj100EEvPKT0_PS1_
; %bb.0:
	s_load_dwordx4 s[0:3], s[4:5], 0x0
	v_lshl_or_b32 v1, s6, 8, v0
	v_lshl_add_u32 v6, v1, 1, v1
	v_mov_b32_e32 v7, 0
	v_lshlrev_b64 v[2:3], 2, v[6:7]
	s_waitcnt lgkmcnt(0)
	v_mov_b32_e32 v1, s1
	v_add_co_u32_e32 v12, vcc, s0, v2
	v_add_u32_e32 v4, 1, v6
	v_mov_b32_e32 v5, v7
	v_addc_co_u32_e32 v13, vcc, v1, v3, vcc
	v_lshlrev_b64 v[4:5], 2, v[4:5]
	v_add_co_u32_e32 v14, vcc, s0, v4
	v_add_u32_e32 v6, 2, v6
	v_addc_co_u32_e32 v15, vcc, v1, v5, vcc
	v_lshlrev_b64 v[6:7], 2, v[6:7]
	v_add_co_u32_e32 v16, vcc, s0, v6
	v_addc_co_u32_e32 v17, vcc, v1, v7, vcc
	global_load_dword v1, v[16:17], off
	global_load_dword v10, v[12:13], off
	;; [unrolled: 1-line block ×3, first 2 shown]
	s_movk_i32 s0, 0xff
	v_lshlrev_b32_e32 v9, 2, v0
	v_cmp_gt_u32_e32 vcc, s0, v0
	s_movk_i32 s4, 0x64
	s_waitcnt vmcnt(2)
	v_mov_b32_e32 v0, v1
.LBB63_1:                               ; =>This Inner Loop Header: Depth=1
	s_waitcnt vmcnt(1)
	ds_write_b32 v9, v10
	s_waitcnt lgkmcnt(0)
	s_barrier
	s_and_saveexec_b64 s[0:1], vcc
	s_cbranch_execz .LBB63_3
; %bb.2:                                ;   in Loop: Header=BB63_1 Depth=1
	ds_read_b32 v0, v9 offset:4
.LBB63_3:                               ;   in Loop: Header=BB63_1 Depth=1
	s_or_b64 exec, exec, s[0:1]
	s_add_i32 s4, s4, -1
	s_cmp_lg_u32 s4, 0
	s_waitcnt lgkmcnt(0)
	s_barrier
	s_cbranch_scc0 .LBB63_5
; %bb.4:                                ;   in Loop: Header=BB63_1 Depth=1
	s_waitcnt vmcnt(0)
	v_mov_b32_e32 v10, v8
	v_mov_b32_e32 v8, v1
	;; [unrolled: 1-line block ×3, first 2 shown]
	s_branch .LBB63_1
.LBB63_5:
	v_mov_b32_e32 v9, s3
	v_add_co_u32_e32 v2, vcc, s2, v2
	v_addc_co_u32_e32 v3, vcc, v9, v3, vcc
	s_waitcnt vmcnt(0)
	global_store_dword v[2:3], v8, off
	v_mov_b32_e32 v3, s3
	v_add_co_u32_e32 v2, vcc, s2, v4
	v_addc_co_u32_e32 v3, vcc, v3, v5, vcc
	global_store_dword v[2:3], v1, off
	v_mov_b32_e32 v1, s3
	v_add_co_u32_e32 v2, vcc, s2, v6
	v_addc_co_u32_e32 v3, vcc, v1, v7, vcc
	global_store_dword v[2:3], v0, off
	s_endpgm
	.section	.rodata,"a",@progbits
	.p2align	6, 0x0
	.amdhsa_kernel _Z6kernelI4downfLj256ELj3ELj100EEvPKT0_PS1_
		.amdhsa_group_segment_fixed_size 1024
		.amdhsa_private_segment_fixed_size 0
		.amdhsa_kernarg_size 16
		.amdhsa_user_sgpr_count 6
		.amdhsa_user_sgpr_private_segment_buffer 1
		.amdhsa_user_sgpr_dispatch_ptr 0
		.amdhsa_user_sgpr_queue_ptr 0
		.amdhsa_user_sgpr_kernarg_segment_ptr 1
		.amdhsa_user_sgpr_dispatch_id 0
		.amdhsa_user_sgpr_flat_scratch_init 0
		.amdhsa_user_sgpr_kernarg_preload_length 0
		.amdhsa_user_sgpr_kernarg_preload_offset 0
		.amdhsa_user_sgpr_private_segment_size 0
		.amdhsa_uses_dynamic_stack 0
		.amdhsa_system_sgpr_private_segment_wavefront_offset 0
		.amdhsa_system_sgpr_workgroup_id_x 1
		.amdhsa_system_sgpr_workgroup_id_y 0
		.amdhsa_system_sgpr_workgroup_id_z 0
		.amdhsa_system_sgpr_workgroup_info 0
		.amdhsa_system_vgpr_workitem_id 0
		.amdhsa_next_free_vgpr 18
		.amdhsa_next_free_sgpr 7
		.amdhsa_accum_offset 20
		.amdhsa_reserve_vcc 1
		.amdhsa_reserve_flat_scratch 0
		.amdhsa_float_round_mode_32 0
		.amdhsa_float_round_mode_16_64 0
		.amdhsa_float_denorm_mode_32 3
		.amdhsa_float_denorm_mode_16_64 3
		.amdhsa_dx10_clamp 1
		.amdhsa_ieee_mode 1
		.amdhsa_fp16_overflow 0
		.amdhsa_tg_split 0
		.amdhsa_exception_fp_ieee_invalid_op 0
		.amdhsa_exception_fp_denorm_src 0
		.amdhsa_exception_fp_ieee_div_zero 0
		.amdhsa_exception_fp_ieee_overflow 0
		.amdhsa_exception_fp_ieee_underflow 0
		.amdhsa_exception_fp_ieee_inexact 0
		.amdhsa_exception_int_div_zero 0
	.end_amdhsa_kernel
	.section	.text._Z6kernelI4downfLj256ELj3ELj100EEvPKT0_PS1_,"axG",@progbits,_Z6kernelI4downfLj256ELj3ELj100EEvPKT0_PS1_,comdat
.Lfunc_end63:
	.size	_Z6kernelI4downfLj256ELj3ELj100EEvPKT0_PS1_, .Lfunc_end63-_Z6kernelI4downfLj256ELj3ELj100EEvPKT0_PS1_
                                        ; -- End function
	.section	.AMDGPU.csdata,"",@progbits
; Kernel info:
; codeLenInByte = 292
; NumSgprs: 11
; NumVgprs: 18
; NumAgprs: 0
; TotalNumVgprs: 18
; ScratchSize: 0
; MemoryBound: 0
; FloatMode: 240
; IeeeMode: 1
; LDSByteSize: 1024 bytes/workgroup (compile time only)
; SGPRBlocks: 1
; VGPRBlocks: 2
; NumSGPRsForWavesPerEU: 11
; NumVGPRsForWavesPerEU: 18
; AccumOffset: 20
; Occupancy: 8
; WaveLimiterHint : 0
; COMPUTE_PGM_RSRC2:SCRATCH_EN: 0
; COMPUTE_PGM_RSRC2:USER_SGPR: 6
; COMPUTE_PGM_RSRC2:TRAP_HANDLER: 0
; COMPUTE_PGM_RSRC2:TGID_X_EN: 1
; COMPUTE_PGM_RSRC2:TGID_Y_EN: 0
; COMPUTE_PGM_RSRC2:TGID_Z_EN: 0
; COMPUTE_PGM_RSRC2:TIDIG_COMP_CNT: 0
; COMPUTE_PGM_RSRC3_GFX90A:ACCUM_OFFSET: 4
; COMPUTE_PGM_RSRC3_GFX90A:TG_SPLIT: 0
	.section	.text._Z6kernelI4downfLj256ELj4ELj100EEvPKT0_PS1_,"axG",@progbits,_Z6kernelI4downfLj256ELj4ELj100EEvPKT0_PS1_,comdat
	.protected	_Z6kernelI4downfLj256ELj4ELj100EEvPKT0_PS1_ ; -- Begin function _Z6kernelI4downfLj256ELj4ELj100EEvPKT0_PS1_
	.globl	_Z6kernelI4downfLj256ELj4ELj100EEvPKT0_PS1_
	.p2align	8
	.type	_Z6kernelI4downfLj256ELj4ELj100EEvPKT0_PS1_,@function
_Z6kernelI4downfLj256ELj4ELj100EEvPKT0_PS1_: ; @_Z6kernelI4downfLj256ELj4ELj100EEvPKT0_PS1_
; %bb.0:
	s_load_dwordx4 s[0:3], s[4:5], 0x0
	v_lshlrev_b32_e32 v1, 2, v0
	v_lshl_or_b32 v2, s6, 10, v1
	v_mov_b32_e32 v3, 0
	v_lshlrev_b64 v[6:7], 2, v[2:3]
	s_waitcnt lgkmcnt(0)
	v_mov_b32_e32 v3, s1
	v_add_co_u32_e32 v2, vcc, s0, v6
	v_addc_co_u32_e32 v3, vcc, v3, v7, vcc
	global_load_dwordx4 v[2:5], v[2:3], off
	s_movk_i32 s0, 0xff
	v_cmp_gt_u32_e32 vcc, s0, v0
	s_movk_i32 s4, 0x64
.LBB64_1:                               ; =>This Inner Loop Header: Depth=1
	s_waitcnt vmcnt(0)
	v_mov_b32_e32 v9, v5
	ds_write_b32 v1, v2
	s_waitcnt lgkmcnt(0)
	s_barrier
	s_and_saveexec_b64 s[0:1], vcc
	s_cbranch_execz .LBB64_3
; %bb.2:                                ;   in Loop: Header=BB64_1 Depth=1
	ds_read_b32 v9, v1 offset:4
.LBB64_3:                               ;   in Loop: Header=BB64_1 Depth=1
	s_or_b64 exec, exec, s[0:1]
	s_add_i32 s4, s4, -1
	s_cmp_lg_u32 s4, 0
	s_waitcnt lgkmcnt(0)
	s_barrier
	s_cbranch_scc0 .LBB64_5
; %bb.4:                                ;   in Loop: Header=BB64_1 Depth=1
	v_mov_b32_e32 v2, v3
	v_mov_b32_e32 v3, v4
	;; [unrolled: 1-line block ×4, first 2 shown]
	s_branch .LBB64_1
.LBB64_5:
	v_mov_b32_e32 v1, s3
	v_add_co_u32_e32 v0, vcc, s2, v6
	v_addc_co_u32_e32 v1, vcc, v1, v7, vcc
	v_mov_b32_e32 v6, v3
	v_mov_b32_e32 v7, v4
	;; [unrolled: 1-line block ×3, first 2 shown]
	global_store_dwordx4 v[0:1], v[6:9], off
	s_endpgm
	.section	.rodata,"a",@progbits
	.p2align	6, 0x0
	.amdhsa_kernel _Z6kernelI4downfLj256ELj4ELj100EEvPKT0_PS1_
		.amdhsa_group_segment_fixed_size 1024
		.amdhsa_private_segment_fixed_size 0
		.amdhsa_kernarg_size 16
		.amdhsa_user_sgpr_count 6
		.amdhsa_user_sgpr_private_segment_buffer 1
		.amdhsa_user_sgpr_dispatch_ptr 0
		.amdhsa_user_sgpr_queue_ptr 0
		.amdhsa_user_sgpr_kernarg_segment_ptr 1
		.amdhsa_user_sgpr_dispatch_id 0
		.amdhsa_user_sgpr_flat_scratch_init 0
		.amdhsa_user_sgpr_kernarg_preload_length 0
		.amdhsa_user_sgpr_kernarg_preload_offset 0
		.amdhsa_user_sgpr_private_segment_size 0
		.amdhsa_uses_dynamic_stack 0
		.amdhsa_system_sgpr_private_segment_wavefront_offset 0
		.amdhsa_system_sgpr_workgroup_id_x 1
		.amdhsa_system_sgpr_workgroup_id_y 0
		.amdhsa_system_sgpr_workgroup_id_z 0
		.amdhsa_system_sgpr_workgroup_info 0
		.amdhsa_system_vgpr_workitem_id 0
		.amdhsa_next_free_vgpr 10
		.amdhsa_next_free_sgpr 7
		.amdhsa_accum_offset 12
		.amdhsa_reserve_vcc 1
		.amdhsa_reserve_flat_scratch 0
		.amdhsa_float_round_mode_32 0
		.amdhsa_float_round_mode_16_64 0
		.amdhsa_float_denorm_mode_32 3
		.amdhsa_float_denorm_mode_16_64 3
		.amdhsa_dx10_clamp 1
		.amdhsa_ieee_mode 1
		.amdhsa_fp16_overflow 0
		.amdhsa_tg_split 0
		.amdhsa_exception_fp_ieee_invalid_op 0
		.amdhsa_exception_fp_denorm_src 0
		.amdhsa_exception_fp_ieee_div_zero 0
		.amdhsa_exception_fp_ieee_overflow 0
		.amdhsa_exception_fp_ieee_underflow 0
		.amdhsa_exception_fp_ieee_inexact 0
		.amdhsa_exception_int_div_zero 0
	.end_amdhsa_kernel
	.section	.text._Z6kernelI4downfLj256ELj4ELj100EEvPKT0_PS1_,"axG",@progbits,_Z6kernelI4downfLj256ELj4ELj100EEvPKT0_PS1_,comdat
.Lfunc_end64:
	.size	_Z6kernelI4downfLj256ELj4ELj100EEvPKT0_PS1_, .Lfunc_end64-_Z6kernelI4downfLj256ELj4ELj100EEvPKT0_PS1_
                                        ; -- End function
	.section	.AMDGPU.csdata,"",@progbits
; Kernel info:
; codeLenInByte = 188
; NumSgprs: 11
; NumVgprs: 10
; NumAgprs: 0
; TotalNumVgprs: 10
; ScratchSize: 0
; MemoryBound: 0
; FloatMode: 240
; IeeeMode: 1
; LDSByteSize: 1024 bytes/workgroup (compile time only)
; SGPRBlocks: 1
; VGPRBlocks: 1
; NumSGPRsForWavesPerEU: 11
; NumVGPRsForWavesPerEU: 10
; AccumOffset: 12
; Occupancy: 8
; WaveLimiterHint : 0
; COMPUTE_PGM_RSRC2:SCRATCH_EN: 0
; COMPUTE_PGM_RSRC2:USER_SGPR: 6
; COMPUTE_PGM_RSRC2:TRAP_HANDLER: 0
; COMPUTE_PGM_RSRC2:TGID_X_EN: 1
; COMPUTE_PGM_RSRC2:TGID_Y_EN: 0
; COMPUTE_PGM_RSRC2:TGID_Z_EN: 0
; COMPUTE_PGM_RSRC2:TIDIG_COMP_CNT: 0
; COMPUTE_PGM_RSRC3_GFX90A:ACCUM_OFFSET: 2
; COMPUTE_PGM_RSRC3_GFX90A:TG_SPLIT: 0
	.section	.text._Z6kernelI4downfLj256ELj8ELj100EEvPKT0_PS1_,"axG",@progbits,_Z6kernelI4downfLj256ELj8ELj100EEvPKT0_PS1_,comdat
	.protected	_Z6kernelI4downfLj256ELj8ELj100EEvPKT0_PS1_ ; -- Begin function _Z6kernelI4downfLj256ELj8ELj100EEvPKT0_PS1_
	.globl	_Z6kernelI4downfLj256ELj8ELj100EEvPKT0_PS1_
	.p2align	8
	.type	_Z6kernelI4downfLj256ELj8ELj100EEvPKT0_PS1_,@function
_Z6kernelI4downfLj256ELj8ELj100EEvPKT0_PS1_: ; @_Z6kernelI4downfLj256ELj8ELj100EEvPKT0_PS1_
; %bb.0:
	s_load_dwordx4 s[0:3], s[4:5], 0x0
	v_lshlrev_b32_e32 v1, 3, v0
	v_lshl_or_b32 v2, s6, 11, v1
	v_mov_b32_e32 v3, 0
	v_lshlrev_b64 v[10:11], 2, v[2:3]
	s_waitcnt lgkmcnt(0)
	v_mov_b32_e32 v1, s1
	v_add_co_u32_e32 v12, vcc, s0, v10
	v_addc_co_u32_e32 v13, vcc, v1, v11, vcc
	global_load_dwordx4 v[2:5], v[12:13], off
	global_load_dwordx4 v[6:9], v[12:13], off offset:16
	s_movk_i32 s0, 0xff
	v_lshlrev_b32_e32 v1, 2, v0
	v_cmp_gt_u32_e32 vcc, s0, v0
	s_movk_i32 s4, 0x64
.LBB65_1:                               ; =>This Inner Loop Header: Depth=1
	s_waitcnt vmcnt(0)
	v_mov_b32_e32 v13, v9
	ds_write_b32 v1, v2
	s_waitcnt lgkmcnt(0)
	s_barrier
	s_and_saveexec_b64 s[0:1], vcc
	s_cbranch_execz .LBB65_3
; %bb.2:                                ;   in Loop: Header=BB65_1 Depth=1
	ds_read_b32 v13, v1 offset:4
.LBB65_3:                               ;   in Loop: Header=BB65_1 Depth=1
	s_or_b64 exec, exec, s[0:1]
	s_add_i32 s4, s4, -1
	s_cmp_lg_u32 s4, 0
	s_waitcnt lgkmcnt(0)
	s_barrier
	s_cbranch_scc0 .LBB65_5
; %bb.4:                                ;   in Loop: Header=BB65_1 Depth=1
	v_mov_b32_e32 v2, v3
	v_mov_b32_e32 v3, v4
	v_mov_b32_e32 v4, v5
	v_mov_b32_e32 v5, v6
	v_mov_b32_e32 v6, v7
	v_mov_b32_e32 v7, v8
	v_mov_b32_e32 v8, v9
	v_mov_b32_e32 v9, v13
	s_branch .LBB65_1
.LBB65_5:
	v_mov_b32_e32 v0, s3
	v_add_co_u32_e32 v14, vcc, s2, v10
	v_addc_co_u32_e32 v15, vcc, v0, v11, vcc
	v_mov_b32_e32 v0, v3
	v_mov_b32_e32 v1, v4
	;; [unrolled: 1-line block ×7, first 2 shown]
	global_store_dwordx4 v[14:15], v[0:3], off
	global_store_dwordx4 v[14:15], v[10:13], off offset:16
	s_endpgm
	.section	.rodata,"a",@progbits
	.p2align	6, 0x0
	.amdhsa_kernel _Z6kernelI4downfLj256ELj8ELj100EEvPKT0_PS1_
		.amdhsa_group_segment_fixed_size 1024
		.amdhsa_private_segment_fixed_size 0
		.amdhsa_kernarg_size 16
		.amdhsa_user_sgpr_count 6
		.amdhsa_user_sgpr_private_segment_buffer 1
		.amdhsa_user_sgpr_dispatch_ptr 0
		.amdhsa_user_sgpr_queue_ptr 0
		.amdhsa_user_sgpr_kernarg_segment_ptr 1
		.amdhsa_user_sgpr_dispatch_id 0
		.amdhsa_user_sgpr_flat_scratch_init 0
		.amdhsa_user_sgpr_kernarg_preload_length 0
		.amdhsa_user_sgpr_kernarg_preload_offset 0
		.amdhsa_user_sgpr_private_segment_size 0
		.amdhsa_uses_dynamic_stack 0
		.amdhsa_system_sgpr_private_segment_wavefront_offset 0
		.amdhsa_system_sgpr_workgroup_id_x 1
		.amdhsa_system_sgpr_workgroup_id_y 0
		.amdhsa_system_sgpr_workgroup_id_z 0
		.amdhsa_system_sgpr_workgroup_info 0
		.amdhsa_system_vgpr_workitem_id 0
		.amdhsa_next_free_vgpr 16
		.amdhsa_next_free_sgpr 7
		.amdhsa_accum_offset 16
		.amdhsa_reserve_vcc 1
		.amdhsa_reserve_flat_scratch 0
		.amdhsa_float_round_mode_32 0
		.amdhsa_float_round_mode_16_64 0
		.amdhsa_float_denorm_mode_32 3
		.amdhsa_float_denorm_mode_16_64 3
		.amdhsa_dx10_clamp 1
		.amdhsa_ieee_mode 1
		.amdhsa_fp16_overflow 0
		.amdhsa_tg_split 0
		.amdhsa_exception_fp_ieee_invalid_op 0
		.amdhsa_exception_fp_denorm_src 0
		.amdhsa_exception_fp_ieee_div_zero 0
		.amdhsa_exception_fp_ieee_overflow 0
		.amdhsa_exception_fp_ieee_underflow 0
		.amdhsa_exception_fp_ieee_inexact 0
		.amdhsa_exception_int_div_zero 0
	.end_amdhsa_kernel
	.section	.text._Z6kernelI4downfLj256ELj8ELj100EEvPKT0_PS1_,"axG",@progbits,_Z6kernelI4downfLj256ELj8ELj100EEvPKT0_PS1_,comdat
.Lfunc_end65:
	.size	_Z6kernelI4downfLj256ELj8ELj100EEvPKT0_PS1_, .Lfunc_end65-_Z6kernelI4downfLj256ELj8ELj100EEvPKT0_PS1_
                                        ; -- End function
	.section	.AMDGPU.csdata,"",@progbits
; Kernel info:
; codeLenInByte = 240
; NumSgprs: 11
; NumVgprs: 16
; NumAgprs: 0
; TotalNumVgprs: 16
; ScratchSize: 0
; MemoryBound: 0
; FloatMode: 240
; IeeeMode: 1
; LDSByteSize: 1024 bytes/workgroup (compile time only)
; SGPRBlocks: 1
; VGPRBlocks: 1
; NumSGPRsForWavesPerEU: 11
; NumVGPRsForWavesPerEU: 16
; AccumOffset: 16
; Occupancy: 8
; WaveLimiterHint : 0
; COMPUTE_PGM_RSRC2:SCRATCH_EN: 0
; COMPUTE_PGM_RSRC2:USER_SGPR: 6
; COMPUTE_PGM_RSRC2:TRAP_HANDLER: 0
; COMPUTE_PGM_RSRC2:TGID_X_EN: 1
; COMPUTE_PGM_RSRC2:TGID_Y_EN: 0
; COMPUTE_PGM_RSRC2:TGID_Z_EN: 0
; COMPUTE_PGM_RSRC2:TIDIG_COMP_CNT: 0
; COMPUTE_PGM_RSRC3_GFX90A:ACCUM_OFFSET: 3
; COMPUTE_PGM_RSRC3_GFX90A:TG_SPLIT: 0
	.section	.text._Z6kernelI4downfLj256ELj16ELj100EEvPKT0_PS1_,"axG",@progbits,_Z6kernelI4downfLj256ELj16ELj100EEvPKT0_PS1_,comdat
	.protected	_Z6kernelI4downfLj256ELj16ELj100EEvPKT0_PS1_ ; -- Begin function _Z6kernelI4downfLj256ELj16ELj100EEvPKT0_PS1_
	.globl	_Z6kernelI4downfLj256ELj16ELj100EEvPKT0_PS1_
	.p2align	8
	.type	_Z6kernelI4downfLj256ELj16ELj100EEvPKT0_PS1_,@function
_Z6kernelI4downfLj256ELj16ELj100EEvPKT0_PS1_: ; @_Z6kernelI4downfLj256ELj16ELj100EEvPKT0_PS1_
; %bb.0:
	s_load_dwordx4 s[0:3], s[4:5], 0x0
	v_lshlrev_b32_e32 v1, 4, v0
	v_lshl_or_b32 v2, s6, 12, v1
	v_mov_b32_e32 v3, 0
	v_lshlrev_b64 v[20:21], 2, v[2:3]
	s_waitcnt lgkmcnt(0)
	v_mov_b32_e32 v1, s1
	v_add_co_u32_e32 v18, vcc, s0, v20
	v_addc_co_u32_e32 v19, vcc, v1, v21, vcc
	global_load_dwordx4 v[6:9], v[18:19], off
	global_load_dwordx4 v[10:13], v[18:19], off offset:16
	global_load_dwordx4 v[2:5], v[18:19], off offset:48
	;; [unrolled: 1-line block ×3, first 2 shown]
	s_movk_i32 s0, 0xff
	v_lshlrev_b32_e32 v1, 2, v0
	v_cmp_gt_u32_e32 vcc, s0, v0
	s_movk_i32 s4, 0x64
.LBB66_1:                               ; =>This Inner Loop Header: Depth=1
	s_waitcnt vmcnt(1)
	v_mov_b32_e32 v18, v5
	ds_write_b32 v1, v6
	s_waitcnt lgkmcnt(0)
	s_barrier
	s_and_saveexec_b64 s[0:1], vcc
	s_cbranch_execz .LBB66_3
; %bb.2:                                ;   in Loop: Header=BB66_1 Depth=1
	ds_read_b32 v5, v1 offset:4
.LBB66_3:                               ;   in Loop: Header=BB66_1 Depth=1
	s_or_b64 exec, exec, s[0:1]
	s_add_i32 s4, s4, -1
	s_cmp_lg_u32 s4, 0
	s_waitcnt lgkmcnt(0)
	s_barrier
	s_cbranch_scc0 .LBB66_5
; %bb.4:                                ;   in Loop: Header=BB66_1 Depth=1
	v_mov_b32_e32 v6, v7
	v_mov_b32_e32 v7, v8
	v_mov_b32_e32 v8, v9
	v_mov_b32_e32 v9, v10
	v_mov_b32_e32 v10, v11
	v_mov_b32_e32 v11, v12
	v_mov_b32_e32 v12, v13
	s_waitcnt vmcnt(0)
	v_mov_b32_e32 v13, v14
	v_mov_b32_e32 v14, v15
	;; [unrolled: 1-line block ×8, first 2 shown]
	s_branch .LBB66_1
.LBB66_5:
	v_mov_b32_e32 v1, s3
	v_add_co_u32_e32 v0, vcc, s2, v20
	v_addc_co_u32_e32 v1, vcc, v1, v21, vcc
	v_mov_b32_e32 v6, v7
	v_mov_b32_e32 v7, v8
	;; [unrolled: 1-line block ×4, first 2 shown]
	global_store_dwordx4 v[0:1], v[6:9], off
	v_mov_b32_e32 v19, v5
	v_mov_b32_e32 v6, v11
	;; [unrolled: 1-line block ×4, first 2 shown]
	s_waitcnt vmcnt(1)
	v_mov_b32_e32 v9, v14
	global_store_dwordx4 v[0:1], v[6:9], off offset:16
	s_nop 0
	v_mov_b32_e32 v6, v15
	v_mov_b32_e32 v7, v16
	;; [unrolled: 1-line block ×6, first 2 shown]
	global_store_dwordx4 v[0:1], v[6:9], off offset:32
	global_store_dwordx4 v[0:1], v[16:19], off offset:48
	s_endpgm
	.section	.rodata,"a",@progbits
	.p2align	6, 0x0
	.amdhsa_kernel _Z6kernelI4downfLj256ELj16ELj100EEvPKT0_PS1_
		.amdhsa_group_segment_fixed_size 1024
		.amdhsa_private_segment_fixed_size 0
		.amdhsa_kernarg_size 16
		.amdhsa_user_sgpr_count 6
		.amdhsa_user_sgpr_private_segment_buffer 1
		.amdhsa_user_sgpr_dispatch_ptr 0
		.amdhsa_user_sgpr_queue_ptr 0
		.amdhsa_user_sgpr_kernarg_segment_ptr 1
		.amdhsa_user_sgpr_dispatch_id 0
		.amdhsa_user_sgpr_flat_scratch_init 0
		.amdhsa_user_sgpr_kernarg_preload_length 0
		.amdhsa_user_sgpr_kernarg_preload_offset 0
		.amdhsa_user_sgpr_private_segment_size 0
		.amdhsa_uses_dynamic_stack 0
		.amdhsa_system_sgpr_private_segment_wavefront_offset 0
		.amdhsa_system_sgpr_workgroup_id_x 1
		.amdhsa_system_sgpr_workgroup_id_y 0
		.amdhsa_system_sgpr_workgroup_id_z 0
		.amdhsa_system_sgpr_workgroup_info 0
		.amdhsa_system_vgpr_workitem_id 0
		.amdhsa_next_free_vgpr 22
		.amdhsa_next_free_sgpr 7
		.amdhsa_accum_offset 24
		.amdhsa_reserve_vcc 1
		.amdhsa_reserve_flat_scratch 0
		.amdhsa_float_round_mode_32 0
		.amdhsa_float_round_mode_16_64 0
		.amdhsa_float_denorm_mode_32 3
		.amdhsa_float_denorm_mode_16_64 3
		.amdhsa_dx10_clamp 1
		.amdhsa_ieee_mode 1
		.amdhsa_fp16_overflow 0
		.amdhsa_tg_split 0
		.amdhsa_exception_fp_ieee_invalid_op 0
		.amdhsa_exception_fp_denorm_src 0
		.amdhsa_exception_fp_ieee_div_zero 0
		.amdhsa_exception_fp_ieee_overflow 0
		.amdhsa_exception_fp_ieee_underflow 0
		.amdhsa_exception_fp_ieee_inexact 0
		.amdhsa_exception_int_div_zero 0
	.end_amdhsa_kernel
	.section	.text._Z6kernelI4downfLj256ELj16ELj100EEvPKT0_PS1_,"axG",@progbits,_Z6kernelI4downfLj256ELj16ELj100EEvPKT0_PS1_,comdat
.Lfunc_end66:
	.size	_Z6kernelI4downfLj256ELj16ELj100EEvPKT0_PS1_, .Lfunc_end66-_Z6kernelI4downfLj256ELj16ELj100EEvPKT0_PS1_
                                        ; -- End function
	.section	.AMDGPU.csdata,"",@progbits
; Kernel info:
; codeLenInByte = 344
; NumSgprs: 11
; NumVgprs: 22
; NumAgprs: 0
; TotalNumVgprs: 22
; ScratchSize: 0
; MemoryBound: 0
; FloatMode: 240
; IeeeMode: 1
; LDSByteSize: 1024 bytes/workgroup (compile time only)
; SGPRBlocks: 1
; VGPRBlocks: 2
; NumSGPRsForWavesPerEU: 11
; NumVGPRsForWavesPerEU: 22
; AccumOffset: 24
; Occupancy: 8
; WaveLimiterHint : 0
; COMPUTE_PGM_RSRC2:SCRATCH_EN: 0
; COMPUTE_PGM_RSRC2:USER_SGPR: 6
; COMPUTE_PGM_RSRC2:TRAP_HANDLER: 0
; COMPUTE_PGM_RSRC2:TGID_X_EN: 1
; COMPUTE_PGM_RSRC2:TGID_Y_EN: 0
; COMPUTE_PGM_RSRC2:TGID_Z_EN: 0
; COMPUTE_PGM_RSRC2:TIDIG_COMP_CNT: 0
; COMPUTE_PGM_RSRC3_GFX90A:ACCUM_OFFSET: 5
; COMPUTE_PGM_RSRC3_GFX90A:TG_SPLIT: 0
	.section	.text._Z6kernelI4downfLj256ELj32ELj100EEvPKT0_PS1_,"axG",@progbits,_Z6kernelI4downfLj256ELj32ELj100EEvPKT0_PS1_,comdat
	.protected	_Z6kernelI4downfLj256ELj32ELj100EEvPKT0_PS1_ ; -- Begin function _Z6kernelI4downfLj256ELj32ELj100EEvPKT0_PS1_
	.globl	_Z6kernelI4downfLj256ELj32ELj100EEvPKT0_PS1_
	.p2align	8
	.type	_Z6kernelI4downfLj256ELj32ELj100EEvPKT0_PS1_,@function
_Z6kernelI4downfLj256ELj32ELj100EEvPKT0_PS1_: ; @_Z6kernelI4downfLj256ELj32ELj100EEvPKT0_PS1_
; %bb.0:
	s_load_dwordx4 s[0:3], s[4:5], 0x0
	v_lshlrev_b32_e32 v1, 5, v0
	v_lshl_or_b32 v2, s6, 13, v1
	v_mov_b32_e32 v3, 0
	v_lshlrev_b64 v[36:37], 2, v[2:3]
	s_waitcnt lgkmcnt(0)
	v_mov_b32_e32 v1, s1
	v_add_co_u32_e32 v38, vcc, s0, v36
	v_addc_co_u32_e32 v39, vcc, v1, v37, vcc
	global_load_dwordx4 v[2:5], v[38:39], off
	global_load_dwordx4 v[6:9], v[38:39], off offset:16
	global_load_dwordx4 v[10:13], v[38:39], off offset:32
	global_load_dwordx3 v[32:34], v[38:39], off offset:48
	global_load_dwordx4 v[14:17], v[38:39], off offset:60
	global_load_dwordx4 v[18:21], v[38:39], off offset:76
	;; [unrolled: 1-line block ×4, first 2 shown]
	global_load_dword v31, v[38:39], off offset:124
	s_movk_i32 s0, 0xff
	v_lshlrev_b32_e32 v1, 2, v0
	v_cmp_gt_u32_e32 vcc, s0, v0
	s_movk_i32 s4, 0x64
.LBB67_1:                               ; =>This Inner Loop Header: Depth=1
	s_waitcnt vmcnt(0)
	v_mov_b32_e32 v30, v31
	ds_write_b32 v1, v2
	s_waitcnt lgkmcnt(0)
	s_barrier
	s_and_saveexec_b64 s[0:1], vcc
	s_cbranch_execz .LBB67_3
; %bb.2:                                ;   in Loop: Header=BB67_1 Depth=1
	ds_read_b32 v31, v1 offset:4
.LBB67_3:                               ;   in Loop: Header=BB67_1 Depth=1
	s_or_b64 exec, exec, s[0:1]
	s_add_i32 s4, s4, -1
	s_cmp_lg_u32 s4, 0
	s_waitcnt lgkmcnt(0)
	s_barrier
	s_cbranch_scc0 .LBB67_5
; %bb.4:                                ;   in Loop: Header=BB67_1 Depth=1
	v_mov_b32_e32 v2, v3
	v_mov_b32_e32 v3, v4
	;; [unrolled: 1-line block ×31, first 2 shown]
	s_branch .LBB67_1
.LBB67_5:
	v_mov_b32_e32 v0, s3
	v_add_co_u32_e32 v36, vcc, s2, v36
	v_addc_co_u32_e32 v37, vcc, v0, v37, vcc
	v_mov_b32_e32 v0, v3
	v_mov_b32_e32 v1, v4
	;; [unrolled: 1-line block ×4, first 2 shown]
	global_store_dwordx4 v[36:37], v[0:3], off
	s_nop 0
	v_mov_b32_e32 v0, v7
	v_mov_b32_e32 v1, v8
	v_mov_b32_e32 v2, v9
	v_mov_b32_e32 v3, v10
	global_store_dwordx4 v[36:37], v[0:3], off offset:16
	s_nop 0
	v_mov_b32_e32 v0, v11
	v_mov_b32_e32 v1, v12
	v_mov_b32_e32 v2, v13
	v_mov_b32_e32 v3, v32
	global_store_dwordx4 v[36:37], v[0:3], off offset:32
	s_nop 0
	v_mov_b32_e32 v0, v33
	v_mov_b32_e32 v1, v34
	v_mov_b32_e32 v2, v14
	v_mov_b32_e32 v3, v15
	global_store_dwordx4 v[36:37], v[0:3], off offset:48
	s_nop 0
	v_mov_b32_e32 v0, v16
	v_mov_b32_e32 v1, v17
	v_mov_b32_e32 v2, v18
	v_mov_b32_e32 v3, v19
	global_store_dwordx4 v[36:37], v[0:3], off offset:64
	s_nop 0
	v_mov_b32_e32 v0, v20
	v_mov_b32_e32 v1, v21
	v_mov_b32_e32 v2, v22
	v_mov_b32_e32 v3, v23
	global_store_dwordx4 v[36:37], v[0:3], off offset:80
	s_nop 0
	v_mov_b32_e32 v0, v24
	v_mov_b32_e32 v1, v25
	v_mov_b32_e32 v2, v26
	v_mov_b32_e32 v3, v27
	global_store_dwordx4 v[36:37], v[0:3], off offset:96
	global_store_dwordx4 v[36:37], v[28:31], off offset:112
	s_endpgm
	.section	.rodata,"a",@progbits
	.p2align	6, 0x0
	.amdhsa_kernel _Z6kernelI4downfLj256ELj32ELj100EEvPKT0_PS1_
		.amdhsa_group_segment_fixed_size 1024
		.amdhsa_private_segment_fixed_size 0
		.amdhsa_kernarg_size 16
		.amdhsa_user_sgpr_count 6
		.amdhsa_user_sgpr_private_segment_buffer 1
		.amdhsa_user_sgpr_dispatch_ptr 0
		.amdhsa_user_sgpr_queue_ptr 0
		.amdhsa_user_sgpr_kernarg_segment_ptr 1
		.amdhsa_user_sgpr_dispatch_id 0
		.amdhsa_user_sgpr_flat_scratch_init 0
		.amdhsa_user_sgpr_kernarg_preload_length 0
		.amdhsa_user_sgpr_kernarg_preload_offset 0
		.amdhsa_user_sgpr_private_segment_size 0
		.amdhsa_uses_dynamic_stack 0
		.amdhsa_system_sgpr_private_segment_wavefront_offset 0
		.amdhsa_system_sgpr_workgroup_id_x 1
		.amdhsa_system_sgpr_workgroup_id_y 0
		.amdhsa_system_sgpr_workgroup_id_z 0
		.amdhsa_system_sgpr_workgroup_info 0
		.amdhsa_system_vgpr_workitem_id 0
		.amdhsa_next_free_vgpr 40
		.amdhsa_next_free_sgpr 7
		.amdhsa_accum_offset 40
		.amdhsa_reserve_vcc 1
		.amdhsa_reserve_flat_scratch 0
		.amdhsa_float_round_mode_32 0
		.amdhsa_float_round_mode_16_64 0
		.amdhsa_float_denorm_mode_32 3
		.amdhsa_float_denorm_mode_16_64 3
		.amdhsa_dx10_clamp 1
		.amdhsa_ieee_mode 1
		.amdhsa_fp16_overflow 0
		.amdhsa_tg_split 0
		.amdhsa_exception_fp_ieee_invalid_op 0
		.amdhsa_exception_fp_denorm_src 0
		.amdhsa_exception_fp_ieee_div_zero 0
		.amdhsa_exception_fp_ieee_overflow 0
		.amdhsa_exception_fp_ieee_underflow 0
		.amdhsa_exception_fp_ieee_inexact 0
		.amdhsa_exception_int_div_zero 0
	.end_amdhsa_kernel
	.section	.text._Z6kernelI4downfLj256ELj32ELj100EEvPKT0_PS1_,"axG",@progbits,_Z6kernelI4downfLj256ELj32ELj100EEvPKT0_PS1_,comdat
.Lfunc_end67:
	.size	_Z6kernelI4downfLj256ELj32ELj100EEvPKT0_PS1_, .Lfunc_end67-_Z6kernelI4downfLj256ELj32ELj100EEvPKT0_PS1_
                                        ; -- End function
	.section	.AMDGPU.csdata,"",@progbits
; Kernel info:
; codeLenInByte = 544
; NumSgprs: 11
; NumVgprs: 40
; NumAgprs: 0
; TotalNumVgprs: 40
; ScratchSize: 0
; MemoryBound: 0
; FloatMode: 240
; IeeeMode: 1
; LDSByteSize: 1024 bytes/workgroup (compile time only)
; SGPRBlocks: 1
; VGPRBlocks: 4
; NumSGPRsForWavesPerEU: 11
; NumVGPRsForWavesPerEU: 40
; AccumOffset: 40
; Occupancy: 8
; WaveLimiterHint : 0
; COMPUTE_PGM_RSRC2:SCRATCH_EN: 0
; COMPUTE_PGM_RSRC2:USER_SGPR: 6
; COMPUTE_PGM_RSRC2:TRAP_HANDLER: 0
; COMPUTE_PGM_RSRC2:TGID_X_EN: 1
; COMPUTE_PGM_RSRC2:TGID_Y_EN: 0
; COMPUTE_PGM_RSRC2:TGID_Z_EN: 0
; COMPUTE_PGM_RSRC2:TIDIG_COMP_CNT: 0
; COMPUTE_PGM_RSRC3_GFX90A:ACCUM_OFFSET: 9
; COMPUTE_PGM_RSRC3_GFX90A:TG_SPLIT: 0
	.section	.text._Z6kernelI4downdLj256ELj1ELj100EEvPKT0_PS1_,"axG",@progbits,_Z6kernelI4downdLj256ELj1ELj100EEvPKT0_PS1_,comdat
	.protected	_Z6kernelI4downdLj256ELj1ELj100EEvPKT0_PS1_ ; -- Begin function _Z6kernelI4downdLj256ELj1ELj100EEvPKT0_PS1_
	.globl	_Z6kernelI4downdLj256ELj1ELj100EEvPKT0_PS1_
	.p2align	8
	.type	_Z6kernelI4downdLj256ELj1ELj100EEvPKT0_PS1_,@function
_Z6kernelI4downdLj256ELj1ELj100EEvPKT0_PS1_: ; @_Z6kernelI4downdLj256ELj1ELj100EEvPKT0_PS1_
; %bb.0:
	s_load_dwordx4 s[0:3], s[4:5], 0x0
	v_lshl_or_b32 v2, s6, 8, v0
	v_mov_b32_e32 v3, 0
	v_lshlrev_b64 v[2:3], 3, v[2:3]
	s_movk_i32 s4, 0x64
	s_waitcnt lgkmcnt(0)
	v_mov_b32_e32 v1, s1
	v_add_co_u32_e32 v4, vcc, s0, v2
	v_addc_co_u32_e32 v5, vcc, v1, v3, vcc
	global_load_dwordx2 v[4:5], v[4:5], off
	s_movk_i32 s0, 0xff
	v_lshlrev_b32_e32 v1, 3, v0
	v_cmp_gt_u32_e32 vcc, s0, v0
	s_branch .LBB68_2
.LBB68_1:                               ;   in Loop: Header=BB68_2 Depth=1
	s_or_b64 exec, exec, s[0:1]
	s_add_i32 s4, s4, -1
	s_cmp_lg_u32 s4, 0
	s_waitcnt lgkmcnt(0)
	s_barrier
	s_cbranch_scc0 .LBB68_4
.LBB68_2:                               ; =>This Inner Loop Header: Depth=1
	s_waitcnt vmcnt(0)
	ds_write_b64 v1, v[4:5]
	s_waitcnt lgkmcnt(0)
	s_barrier
	s_and_saveexec_b64 s[0:1], vcc
	s_cbranch_execz .LBB68_1
; %bb.3:                                ;   in Loop: Header=BB68_2 Depth=1
	ds_read_b64 v[4:5], v1 offset:8
	s_branch .LBB68_1
.LBB68_4:
	v_mov_b32_e32 v1, s3
	v_add_co_u32_e32 v0, vcc, s2, v2
	v_addc_co_u32_e32 v1, vcc, v1, v3, vcc
	global_store_dwordx2 v[0:1], v[4:5], off
	s_endpgm
	.section	.rodata,"a",@progbits
	.p2align	6, 0x0
	.amdhsa_kernel _Z6kernelI4downdLj256ELj1ELj100EEvPKT0_PS1_
		.amdhsa_group_segment_fixed_size 2048
		.amdhsa_private_segment_fixed_size 0
		.amdhsa_kernarg_size 16
		.amdhsa_user_sgpr_count 6
		.amdhsa_user_sgpr_private_segment_buffer 1
		.amdhsa_user_sgpr_dispatch_ptr 0
		.amdhsa_user_sgpr_queue_ptr 0
		.amdhsa_user_sgpr_kernarg_segment_ptr 1
		.amdhsa_user_sgpr_dispatch_id 0
		.amdhsa_user_sgpr_flat_scratch_init 0
		.amdhsa_user_sgpr_kernarg_preload_length 0
		.amdhsa_user_sgpr_kernarg_preload_offset 0
		.amdhsa_user_sgpr_private_segment_size 0
		.amdhsa_uses_dynamic_stack 0
		.amdhsa_system_sgpr_private_segment_wavefront_offset 0
		.amdhsa_system_sgpr_workgroup_id_x 1
		.amdhsa_system_sgpr_workgroup_id_y 0
		.amdhsa_system_sgpr_workgroup_id_z 0
		.amdhsa_system_sgpr_workgroup_info 0
		.amdhsa_system_vgpr_workitem_id 0
		.amdhsa_next_free_vgpr 6
		.amdhsa_next_free_sgpr 7
		.amdhsa_accum_offset 8
		.amdhsa_reserve_vcc 1
		.amdhsa_reserve_flat_scratch 0
		.amdhsa_float_round_mode_32 0
		.amdhsa_float_round_mode_16_64 0
		.amdhsa_float_denorm_mode_32 3
		.amdhsa_float_denorm_mode_16_64 3
		.amdhsa_dx10_clamp 1
		.amdhsa_ieee_mode 1
		.amdhsa_fp16_overflow 0
		.amdhsa_tg_split 0
		.amdhsa_exception_fp_ieee_invalid_op 0
		.amdhsa_exception_fp_denorm_src 0
		.amdhsa_exception_fp_ieee_div_zero 0
		.amdhsa_exception_fp_ieee_overflow 0
		.amdhsa_exception_fp_ieee_underflow 0
		.amdhsa_exception_fp_ieee_inexact 0
		.amdhsa_exception_int_div_zero 0
	.end_amdhsa_kernel
	.section	.text._Z6kernelI4downdLj256ELj1ELj100EEvPKT0_PS1_,"axG",@progbits,_Z6kernelI4downdLj256ELj1ELj100EEvPKT0_PS1_,comdat
.Lfunc_end68:
	.size	_Z6kernelI4downdLj256ELj1ELj100EEvPKT0_PS1_, .Lfunc_end68-_Z6kernelI4downdLj256ELj1ELj100EEvPKT0_PS1_
                                        ; -- End function
	.section	.AMDGPU.csdata,"",@progbits
; Kernel info:
; codeLenInByte = 160
; NumSgprs: 11
; NumVgprs: 6
; NumAgprs: 0
; TotalNumVgprs: 6
; ScratchSize: 0
; MemoryBound: 0
; FloatMode: 240
; IeeeMode: 1
; LDSByteSize: 2048 bytes/workgroup (compile time only)
; SGPRBlocks: 1
; VGPRBlocks: 0
; NumSGPRsForWavesPerEU: 11
; NumVGPRsForWavesPerEU: 6
; AccumOffset: 8
; Occupancy: 8
; WaveLimiterHint : 0
; COMPUTE_PGM_RSRC2:SCRATCH_EN: 0
; COMPUTE_PGM_RSRC2:USER_SGPR: 6
; COMPUTE_PGM_RSRC2:TRAP_HANDLER: 0
; COMPUTE_PGM_RSRC2:TGID_X_EN: 1
; COMPUTE_PGM_RSRC2:TGID_Y_EN: 0
; COMPUTE_PGM_RSRC2:TGID_Z_EN: 0
; COMPUTE_PGM_RSRC2:TIDIG_COMP_CNT: 0
; COMPUTE_PGM_RSRC3_GFX90A:ACCUM_OFFSET: 1
; COMPUTE_PGM_RSRC3_GFX90A:TG_SPLIT: 0
	.section	.text._Z6kernelI4downdLj256ELj3ELj100EEvPKT0_PS1_,"axG",@progbits,_Z6kernelI4downdLj256ELj3ELj100EEvPKT0_PS1_,comdat
	.protected	_Z6kernelI4downdLj256ELj3ELj100EEvPKT0_PS1_ ; -- Begin function _Z6kernelI4downdLj256ELj3ELj100EEvPKT0_PS1_
	.globl	_Z6kernelI4downdLj256ELj3ELj100EEvPKT0_PS1_
	.p2align	8
	.type	_Z6kernelI4downdLj256ELj3ELj100EEvPKT0_PS1_,@function
_Z6kernelI4downdLj256ELj3ELj100EEvPKT0_PS1_: ; @_Z6kernelI4downdLj256ELj3ELj100EEvPKT0_PS1_
; %bb.0:
	s_load_dwordx4 s[0:3], s[4:5], 0x0
	v_lshl_or_b32 v1, s6, 8, v0
	v_lshl_add_u32 v6, v1, 1, v1
	v_mov_b32_e32 v7, 0
	v_lshlrev_b64 v[2:3], 3, v[6:7]
	s_waitcnt lgkmcnt(0)
	v_mov_b32_e32 v1, s1
	v_add_co_u32_e32 v14, vcc, s0, v2
	v_add_u32_e32 v4, 1, v6
	v_mov_b32_e32 v5, v7
	v_addc_co_u32_e32 v15, vcc, v1, v3, vcc
	v_lshlrev_b64 v[4:5], 3, v[4:5]
	v_add_co_u32_e32 v16, vcc, s0, v4
	v_add_u32_e32 v6, 2, v6
	v_addc_co_u32_e32 v17, vcc, v1, v5, vcc
	v_lshlrev_b64 v[6:7], 3, v[6:7]
	v_add_co_u32_e32 v18, vcc, s0, v6
	v_addc_co_u32_e32 v19, vcc, v1, v7, vcc
	global_load_dwordx2 v[8:9], v[18:19], off
	global_load_dwordx2 v[12:13], v[14:15], off
	;; [unrolled: 1-line block ×3, first 2 shown]
	s_movk_i32 s0, 0xff
	v_lshlrev_b32_e32 v14, 3, v0
	v_cmp_gt_u32_e32 vcc, s0, v0
	s_movk_i32 s4, 0x64
	s_waitcnt vmcnt(2)
	v_pk_mov_b32 v[0:1], v[8:9], v[8:9] op_sel:[0,1]
.LBB69_1:                               ; =>This Inner Loop Header: Depth=1
	s_waitcnt vmcnt(1)
	ds_write_b64 v14, v[12:13]
	s_waitcnt lgkmcnt(0)
	s_barrier
	s_and_saveexec_b64 s[0:1], vcc
	s_cbranch_execz .LBB69_3
; %bb.2:                                ;   in Loop: Header=BB69_1 Depth=1
	ds_read_b64 v[0:1], v14 offset:8
.LBB69_3:                               ;   in Loop: Header=BB69_1 Depth=1
	s_or_b64 exec, exec, s[0:1]
	s_add_i32 s4, s4, -1
	s_cmp_lg_u32 s4, 0
	s_waitcnt lgkmcnt(0)
	s_barrier
	s_cbranch_scc0 .LBB69_5
; %bb.4:                                ;   in Loop: Header=BB69_1 Depth=1
	s_waitcnt vmcnt(0)
	v_pk_mov_b32 v[12:13], v[10:11], v[10:11] op_sel:[0,1]
	v_pk_mov_b32 v[10:11], v[8:9], v[8:9] op_sel:[0,1]
	;; [unrolled: 1-line block ×3, first 2 shown]
	s_branch .LBB69_1
.LBB69_5:
	v_mov_b32_e32 v12, s3
	v_add_co_u32_e32 v2, vcc, s2, v2
	v_addc_co_u32_e32 v3, vcc, v12, v3, vcc
	s_waitcnt vmcnt(0)
	global_store_dwordx2 v[2:3], v[10:11], off
	v_mov_b32_e32 v3, s3
	v_add_co_u32_e32 v2, vcc, s2, v4
	v_addc_co_u32_e32 v3, vcc, v3, v5, vcc
	global_store_dwordx2 v[2:3], v[8:9], off
	v_mov_b32_e32 v3, s3
	v_add_co_u32_e32 v2, vcc, s2, v6
	v_addc_co_u32_e32 v3, vcc, v3, v7, vcc
	global_store_dwordx2 v[2:3], v[0:1], off
	s_endpgm
	.section	.rodata,"a",@progbits
	.p2align	6, 0x0
	.amdhsa_kernel _Z6kernelI4downdLj256ELj3ELj100EEvPKT0_PS1_
		.amdhsa_group_segment_fixed_size 2048
		.amdhsa_private_segment_fixed_size 0
		.amdhsa_kernarg_size 16
		.amdhsa_user_sgpr_count 6
		.amdhsa_user_sgpr_private_segment_buffer 1
		.amdhsa_user_sgpr_dispatch_ptr 0
		.amdhsa_user_sgpr_queue_ptr 0
		.amdhsa_user_sgpr_kernarg_segment_ptr 1
		.amdhsa_user_sgpr_dispatch_id 0
		.amdhsa_user_sgpr_flat_scratch_init 0
		.amdhsa_user_sgpr_kernarg_preload_length 0
		.amdhsa_user_sgpr_kernarg_preload_offset 0
		.amdhsa_user_sgpr_private_segment_size 0
		.amdhsa_uses_dynamic_stack 0
		.amdhsa_system_sgpr_private_segment_wavefront_offset 0
		.amdhsa_system_sgpr_workgroup_id_x 1
		.amdhsa_system_sgpr_workgroup_id_y 0
		.amdhsa_system_sgpr_workgroup_id_z 0
		.amdhsa_system_sgpr_workgroup_info 0
		.amdhsa_system_vgpr_workitem_id 0
		.amdhsa_next_free_vgpr 20
		.amdhsa_next_free_sgpr 7
		.amdhsa_accum_offset 20
		.amdhsa_reserve_vcc 1
		.amdhsa_reserve_flat_scratch 0
		.amdhsa_float_round_mode_32 0
		.amdhsa_float_round_mode_16_64 0
		.amdhsa_float_denorm_mode_32 3
		.amdhsa_float_denorm_mode_16_64 3
		.amdhsa_dx10_clamp 1
		.amdhsa_ieee_mode 1
		.amdhsa_fp16_overflow 0
		.amdhsa_tg_split 0
		.amdhsa_exception_fp_ieee_invalid_op 0
		.amdhsa_exception_fp_denorm_src 0
		.amdhsa_exception_fp_ieee_div_zero 0
		.amdhsa_exception_fp_ieee_overflow 0
		.amdhsa_exception_fp_ieee_underflow 0
		.amdhsa_exception_fp_ieee_inexact 0
		.amdhsa_exception_int_div_zero 0
	.end_amdhsa_kernel
	.section	.text._Z6kernelI4downdLj256ELj3ELj100EEvPKT0_PS1_,"axG",@progbits,_Z6kernelI4downdLj256ELj3ELj100EEvPKT0_PS1_,comdat
.Lfunc_end69:
	.size	_Z6kernelI4downdLj256ELj3ELj100EEvPKT0_PS1_, .Lfunc_end69-_Z6kernelI4downdLj256ELj3ELj100EEvPKT0_PS1_
                                        ; -- End function
	.section	.AMDGPU.csdata,"",@progbits
; Kernel info:
; codeLenInByte = 308
; NumSgprs: 11
; NumVgprs: 20
; NumAgprs: 0
; TotalNumVgprs: 20
; ScratchSize: 0
; MemoryBound: 0
; FloatMode: 240
; IeeeMode: 1
; LDSByteSize: 2048 bytes/workgroup (compile time only)
; SGPRBlocks: 1
; VGPRBlocks: 2
; NumSGPRsForWavesPerEU: 11
; NumVGPRsForWavesPerEU: 20
; AccumOffset: 20
; Occupancy: 8
; WaveLimiterHint : 0
; COMPUTE_PGM_RSRC2:SCRATCH_EN: 0
; COMPUTE_PGM_RSRC2:USER_SGPR: 6
; COMPUTE_PGM_RSRC2:TRAP_HANDLER: 0
; COMPUTE_PGM_RSRC2:TGID_X_EN: 1
; COMPUTE_PGM_RSRC2:TGID_Y_EN: 0
; COMPUTE_PGM_RSRC2:TGID_Z_EN: 0
; COMPUTE_PGM_RSRC2:TIDIG_COMP_CNT: 0
; COMPUTE_PGM_RSRC3_GFX90A:ACCUM_OFFSET: 4
; COMPUTE_PGM_RSRC3_GFX90A:TG_SPLIT: 0
	.section	.text._Z6kernelI4downdLj256ELj4ELj100EEvPKT0_PS1_,"axG",@progbits,_Z6kernelI4downdLj256ELj4ELj100EEvPKT0_PS1_,comdat
	.protected	_Z6kernelI4downdLj256ELj4ELj100EEvPKT0_PS1_ ; -- Begin function _Z6kernelI4downdLj256ELj4ELj100EEvPKT0_PS1_
	.globl	_Z6kernelI4downdLj256ELj4ELj100EEvPKT0_PS1_
	.p2align	8
	.type	_Z6kernelI4downdLj256ELj4ELj100EEvPKT0_PS1_,@function
_Z6kernelI4downdLj256ELj4ELj100EEvPKT0_PS1_: ; @_Z6kernelI4downdLj256ELj4ELj100EEvPKT0_PS1_
; %bb.0:
	s_load_dwordx4 s[0:3], s[4:5], 0x0
	v_lshlrev_b32_e32 v1, 2, v0
	v_lshl_or_b32 v2, s6, 10, v1
	v_mov_b32_e32 v3, 0
	v_lshlrev_b64 v[12:13], 3, v[2:3]
	s_waitcnt lgkmcnt(0)
	v_mov_b32_e32 v1, s1
	v_add_co_u32_e32 v10, vcc, s0, v12
	v_addc_co_u32_e32 v11, vcc, v1, v13, vcc
	global_load_dwordx4 v[2:5], v[10:11], off offset:16
	global_load_dwordx4 v[6:9], v[10:11], off
	s_movk_i32 s0, 0xff
	v_lshlrev_b32_e32 v1, 3, v0
	v_cmp_gt_u32_e32 vcc, s0, v0
	s_movk_i32 s4, 0x64
.LBB70_1:                               ; =>This Inner Loop Header: Depth=1
	s_waitcnt vmcnt(1)
	v_pk_mov_b32 v[10:11], v[4:5], v[4:5] op_sel:[0,1]
	s_waitcnt vmcnt(0)
	ds_write_b64 v1, v[6:7]
	s_waitcnt lgkmcnt(0)
	s_barrier
	s_and_saveexec_b64 s[0:1], vcc
	s_cbranch_execz .LBB70_3
; %bb.2:                                ;   in Loop: Header=BB70_1 Depth=1
	ds_read_b64 v[10:11], v1 offset:8
.LBB70_3:                               ;   in Loop: Header=BB70_1 Depth=1
	s_or_b64 exec, exec, s[0:1]
	s_add_i32 s4, s4, -1
	s_cmp_lg_u32 s4, 0
	s_waitcnt lgkmcnt(0)
	s_barrier
	s_cbranch_scc0 .LBB70_5
; %bb.4:                                ;   in Loop: Header=BB70_1 Depth=1
	v_pk_mov_b32 v[6:7], v[8:9], v[8:9] op_sel:[0,1]
	v_pk_mov_b32 v[8:9], v[2:3], v[2:3] op_sel:[0,1]
	;; [unrolled: 1-line block ×4, first 2 shown]
	s_branch .LBB70_1
.LBB70_5:
	v_mov_b32_e32 v0, s3
	v_add_co_u32_e32 v6, vcc, s2, v12
	v_addc_co_u32_e32 v7, vcc, v0, v13, vcc
	v_mov_b32_e32 v0, v8
	v_mov_b32_e32 v1, v9
	;; [unrolled: 1-line block ×4, first 2 shown]
	global_store_dwordx4 v[6:7], v[0:3], off
	global_store_dwordx4 v[6:7], v[8:11], off offset:16
	s_endpgm
	.section	.rodata,"a",@progbits
	.p2align	6, 0x0
	.amdhsa_kernel _Z6kernelI4downdLj256ELj4ELj100EEvPKT0_PS1_
		.amdhsa_group_segment_fixed_size 2048
		.amdhsa_private_segment_fixed_size 0
		.amdhsa_kernarg_size 16
		.amdhsa_user_sgpr_count 6
		.amdhsa_user_sgpr_private_segment_buffer 1
		.amdhsa_user_sgpr_dispatch_ptr 0
		.amdhsa_user_sgpr_queue_ptr 0
		.amdhsa_user_sgpr_kernarg_segment_ptr 1
		.amdhsa_user_sgpr_dispatch_id 0
		.amdhsa_user_sgpr_flat_scratch_init 0
		.amdhsa_user_sgpr_kernarg_preload_length 0
		.amdhsa_user_sgpr_kernarg_preload_offset 0
		.amdhsa_user_sgpr_private_segment_size 0
		.amdhsa_uses_dynamic_stack 0
		.amdhsa_system_sgpr_private_segment_wavefront_offset 0
		.amdhsa_system_sgpr_workgroup_id_x 1
		.amdhsa_system_sgpr_workgroup_id_y 0
		.amdhsa_system_sgpr_workgroup_id_z 0
		.amdhsa_system_sgpr_workgroup_info 0
		.amdhsa_system_vgpr_workitem_id 0
		.amdhsa_next_free_vgpr 14
		.amdhsa_next_free_sgpr 7
		.amdhsa_accum_offset 16
		.amdhsa_reserve_vcc 1
		.amdhsa_reserve_flat_scratch 0
		.amdhsa_float_round_mode_32 0
		.amdhsa_float_round_mode_16_64 0
		.amdhsa_float_denorm_mode_32 3
		.amdhsa_float_denorm_mode_16_64 3
		.amdhsa_dx10_clamp 1
		.amdhsa_ieee_mode 1
		.amdhsa_fp16_overflow 0
		.amdhsa_tg_split 0
		.amdhsa_exception_fp_ieee_invalid_op 0
		.amdhsa_exception_fp_denorm_src 0
		.amdhsa_exception_fp_ieee_div_zero 0
		.amdhsa_exception_fp_ieee_overflow 0
		.amdhsa_exception_fp_ieee_underflow 0
		.amdhsa_exception_fp_ieee_inexact 0
		.amdhsa_exception_int_div_zero 0
	.end_amdhsa_kernel
	.section	.text._Z6kernelI4downdLj256ELj4ELj100EEvPKT0_PS1_,"axG",@progbits,_Z6kernelI4downdLj256ELj4ELj100EEvPKT0_PS1_,comdat
.Lfunc_end70:
	.size	_Z6kernelI4downdLj256ELj4ELj100EEvPKT0_PS1_, .Lfunc_end70-_Z6kernelI4downdLj256ELj4ELj100EEvPKT0_PS1_
                                        ; -- End function
	.section	.AMDGPU.csdata,"",@progbits
; Kernel info:
; codeLenInByte = 236
; NumSgprs: 11
; NumVgprs: 14
; NumAgprs: 0
; TotalNumVgprs: 14
; ScratchSize: 0
; MemoryBound: 0
; FloatMode: 240
; IeeeMode: 1
; LDSByteSize: 2048 bytes/workgroup (compile time only)
; SGPRBlocks: 1
; VGPRBlocks: 1
; NumSGPRsForWavesPerEU: 11
; NumVGPRsForWavesPerEU: 14
; AccumOffset: 16
; Occupancy: 8
; WaveLimiterHint : 0
; COMPUTE_PGM_RSRC2:SCRATCH_EN: 0
; COMPUTE_PGM_RSRC2:USER_SGPR: 6
; COMPUTE_PGM_RSRC2:TRAP_HANDLER: 0
; COMPUTE_PGM_RSRC2:TGID_X_EN: 1
; COMPUTE_PGM_RSRC2:TGID_Y_EN: 0
; COMPUTE_PGM_RSRC2:TGID_Z_EN: 0
; COMPUTE_PGM_RSRC2:TIDIG_COMP_CNT: 0
; COMPUTE_PGM_RSRC3_GFX90A:ACCUM_OFFSET: 3
; COMPUTE_PGM_RSRC3_GFX90A:TG_SPLIT: 0
	.section	.text._Z6kernelI4downdLj256ELj8ELj100EEvPKT0_PS1_,"axG",@progbits,_Z6kernelI4downdLj256ELj8ELj100EEvPKT0_PS1_,comdat
	.protected	_Z6kernelI4downdLj256ELj8ELj100EEvPKT0_PS1_ ; -- Begin function _Z6kernelI4downdLj256ELj8ELj100EEvPKT0_PS1_
	.globl	_Z6kernelI4downdLj256ELj8ELj100EEvPKT0_PS1_
	.p2align	8
	.type	_Z6kernelI4downdLj256ELj8ELj100EEvPKT0_PS1_,@function
_Z6kernelI4downdLj256ELj8ELj100EEvPKT0_PS1_: ; @_Z6kernelI4downdLj256ELj8ELj100EEvPKT0_PS1_
; %bb.0:
	s_load_dwordx4 s[0:3], s[4:5], 0x0
	v_lshlrev_b32_e32 v1, 3, v0
	v_lshl_or_b32 v2, s6, 11, v1
	v_mov_b32_e32 v3, 0
	v_lshlrev_b64 v[20:21], 3, v[2:3]
	s_waitcnt lgkmcnt(0)
	v_mov_b32_e32 v2, s1
	v_add_co_u32_e32 v18, vcc, s0, v20
	v_addc_co_u32_e32 v19, vcc, v2, v21, vcc
	global_load_dwordx4 v[2:5], v[18:19], off offset:48
	global_load_dwordx4 v[6:9], v[18:19], off offset:32
	;; [unrolled: 1-line block ×3, first 2 shown]
	global_load_dwordx4 v[14:17], v[18:19], off
	s_movk_i32 s0, 0xff
	v_cmp_gt_u32_e32 vcc, s0, v0
	s_movk_i32 s4, 0x64
.LBB71_1:                               ; =>This Inner Loop Header: Depth=1
	s_waitcnt vmcnt(0)
	v_pk_mov_b32 v[18:19], v[16:17], v[16:17] op_sel:[0,1]
	v_pk_mov_b32 v[16:17], v[10:11], v[10:11] op_sel:[0,1]
	;; [unrolled: 1-line block ×7, first 2 shown]
	ds_write_b64 v1, v[14:15]
	s_waitcnt lgkmcnt(0)
	s_barrier
	s_and_saveexec_b64 s[0:1], vcc
	s_cbranch_execz .LBB71_3
; %bb.2:                                ;   in Loop: Header=BB71_1 Depth=1
	ds_read_b64 v[4:5], v1 offset:8
.LBB71_3:                               ;   in Loop: Header=BB71_1 Depth=1
	s_or_b64 exec, exec, s[0:1]
	s_add_i32 s4, s4, -1
	s_cmp_lg_u32 s4, 0
	s_waitcnt lgkmcnt(0)
	s_barrier
	s_cbranch_scc0 .LBB71_5
; %bb.4:                                ;   in Loop: Header=BB71_1 Depth=1
	v_pk_mov_b32 v[14:15], v[18:19], v[18:19] op_sel:[0,1]
	s_branch .LBB71_1
.LBB71_5:
	v_mov_b32_e32 v1, s3
	v_add_co_u32_e32 v0, vcc, s2, v20
	v_addc_co_u32_e32 v1, vcc, v1, v21, vcc
	v_mov_b32_e32 v20, v16
	v_mov_b32_e32 v21, v17
	global_store_dwordx4 v[0:1], v[18:21], off
	global_store_dwordx4 v[0:1], v[10:13], off offset:16
	global_store_dwordx4 v[0:1], v[6:9], off offset:32
	;; [unrolled: 1-line block ×3, first 2 shown]
	s_endpgm
	.section	.rodata,"a",@progbits
	.p2align	6, 0x0
	.amdhsa_kernel _Z6kernelI4downdLj256ELj8ELj100EEvPKT0_PS1_
		.amdhsa_group_segment_fixed_size 2048
		.amdhsa_private_segment_fixed_size 0
		.amdhsa_kernarg_size 16
		.amdhsa_user_sgpr_count 6
		.amdhsa_user_sgpr_private_segment_buffer 1
		.amdhsa_user_sgpr_dispatch_ptr 0
		.amdhsa_user_sgpr_queue_ptr 0
		.amdhsa_user_sgpr_kernarg_segment_ptr 1
		.amdhsa_user_sgpr_dispatch_id 0
		.amdhsa_user_sgpr_flat_scratch_init 0
		.amdhsa_user_sgpr_kernarg_preload_length 0
		.amdhsa_user_sgpr_kernarg_preload_offset 0
		.amdhsa_user_sgpr_private_segment_size 0
		.amdhsa_uses_dynamic_stack 0
		.amdhsa_system_sgpr_private_segment_wavefront_offset 0
		.amdhsa_system_sgpr_workgroup_id_x 1
		.amdhsa_system_sgpr_workgroup_id_y 0
		.amdhsa_system_sgpr_workgroup_id_z 0
		.amdhsa_system_sgpr_workgroup_info 0
		.amdhsa_system_vgpr_workitem_id 0
		.amdhsa_next_free_vgpr 22
		.amdhsa_next_free_sgpr 7
		.amdhsa_accum_offset 24
		.amdhsa_reserve_vcc 1
		.amdhsa_reserve_flat_scratch 0
		.amdhsa_float_round_mode_32 0
		.amdhsa_float_round_mode_16_64 0
		.amdhsa_float_denorm_mode_32 3
		.amdhsa_float_denorm_mode_16_64 3
		.amdhsa_dx10_clamp 1
		.amdhsa_ieee_mode 1
		.amdhsa_fp16_overflow 0
		.amdhsa_tg_split 0
		.amdhsa_exception_fp_ieee_invalid_op 0
		.amdhsa_exception_fp_denorm_src 0
		.amdhsa_exception_fp_ieee_div_zero 0
		.amdhsa_exception_fp_ieee_overflow 0
		.amdhsa_exception_fp_ieee_underflow 0
		.amdhsa_exception_fp_ieee_inexact 0
		.amdhsa_exception_int_div_zero 0
	.end_amdhsa_kernel
	.section	.text._Z6kernelI4downdLj256ELj8ELj100EEvPKT0_PS1_,"axG",@progbits,_Z6kernelI4downdLj256ELj8ELj100EEvPKT0_PS1_,comdat
.Lfunc_end71:
	.size	_Z6kernelI4downdLj256ELj8ELj100EEvPKT0_PS1_, .Lfunc_end71-_Z6kernelI4downdLj256ELj8ELj100EEvPKT0_PS1_
                                        ; -- End function
	.section	.AMDGPU.csdata,"",@progbits
; Kernel info:
; codeLenInByte = 276
; NumSgprs: 11
; NumVgprs: 22
; NumAgprs: 0
; TotalNumVgprs: 22
; ScratchSize: 0
; MemoryBound: 1
; FloatMode: 240
; IeeeMode: 1
; LDSByteSize: 2048 bytes/workgroup (compile time only)
; SGPRBlocks: 1
; VGPRBlocks: 2
; NumSGPRsForWavesPerEU: 11
; NumVGPRsForWavesPerEU: 22
; AccumOffset: 24
; Occupancy: 8
; WaveLimiterHint : 0
; COMPUTE_PGM_RSRC2:SCRATCH_EN: 0
; COMPUTE_PGM_RSRC2:USER_SGPR: 6
; COMPUTE_PGM_RSRC2:TRAP_HANDLER: 0
; COMPUTE_PGM_RSRC2:TGID_X_EN: 1
; COMPUTE_PGM_RSRC2:TGID_Y_EN: 0
; COMPUTE_PGM_RSRC2:TGID_Z_EN: 0
; COMPUTE_PGM_RSRC2:TIDIG_COMP_CNT: 0
; COMPUTE_PGM_RSRC3_GFX90A:ACCUM_OFFSET: 5
; COMPUTE_PGM_RSRC3_GFX90A:TG_SPLIT: 0
	.section	.text._Z6kernelI4downdLj256ELj16ELj100EEvPKT0_PS1_,"axG",@progbits,_Z6kernelI4downdLj256ELj16ELj100EEvPKT0_PS1_,comdat
	.protected	_Z6kernelI4downdLj256ELj16ELj100EEvPKT0_PS1_ ; -- Begin function _Z6kernelI4downdLj256ELj16ELj100EEvPKT0_PS1_
	.globl	_Z6kernelI4downdLj256ELj16ELj100EEvPKT0_PS1_
	.p2align	8
	.type	_Z6kernelI4downdLj256ELj16ELj100EEvPKT0_PS1_,@function
_Z6kernelI4downdLj256ELj16ELj100EEvPKT0_PS1_: ; @_Z6kernelI4downdLj256ELj16ELj100EEvPKT0_PS1_
; %bb.0:
	s_load_dwordx4 s[0:3], s[4:5], 0x0
	v_lshlrev_b32_e32 v1, 4, v0
	v_lshl_or_b32 v2, s6, 12, v1
	v_mov_b32_e32 v3, 0
	v_lshlrev_b64 v[36:37], 3, v[2:3]
	s_waitcnt lgkmcnt(0)
	v_mov_b32_e32 v1, s1
	v_add_co_u32_e32 v34, vcc, s0, v36
	v_addc_co_u32_e32 v35, vcc, v1, v37, vcc
	global_load_dwordx4 v[2:5], v[34:35], off offset:48
	global_load_dwordx4 v[10:13], v[34:35], off offset:32
	global_load_dwordx4 v[18:21], v[34:35], off offset:16
	global_load_dwordx4 v[26:29], v[34:35], off
	global_load_dwordx4 v[6:9], v[34:35], off offset:112
	global_load_dwordx4 v[14:17], v[34:35], off offset:96
	global_load_dwordx4 v[22:25], v[34:35], off offset:80
	global_load_dwordx4 v[30:33], v[34:35], off offset:64
	s_movk_i32 s0, 0xff
	v_lshlrev_b32_e32 v1, 3, v0
	v_cmp_gt_u32_e32 vcc, s0, v0
	s_movk_i32 s4, 0x64
.LBB72_1:                               ; =>This Inner Loop Header: Depth=1
	s_waitcnt vmcnt(4)
	v_pk_mov_b32 v[34:35], v[28:29], v[28:29] op_sel:[0,1]
	v_pk_mov_b32 v[28:29], v[18:19], v[18:19] op_sel:[0,1]
	;; [unrolled: 1-line block ×7, first 2 shown]
	s_waitcnt vmcnt(0)
	v_pk_mov_b32 v[4:5], v[30:31], v[30:31] op_sel:[0,1]
	v_pk_mov_b32 v[30:31], v[32:33], v[32:33] op_sel:[0,1]
	;; [unrolled: 1-line block ×8, first 2 shown]
	ds_write_b64 v1, v[26:27]
	s_waitcnt lgkmcnt(0)
	s_barrier
	s_and_saveexec_b64 s[0:1], vcc
	s_cbranch_execz .LBB72_3
; %bb.2:                                ;   in Loop: Header=BB72_1 Depth=1
	ds_read_b64 v[8:9], v1 offset:8
.LBB72_3:                               ;   in Loop: Header=BB72_1 Depth=1
	s_or_b64 exec, exec, s[0:1]
	s_add_i32 s4, s4, -1
	s_cmp_lg_u32 s4, 0
	s_waitcnt lgkmcnt(0)
	s_barrier
	s_cbranch_scc0 .LBB72_5
; %bb.4:                                ;   in Loop: Header=BB72_1 Depth=1
	v_pk_mov_b32 v[26:27], v[34:35], v[34:35] op_sel:[0,1]
	s_branch .LBB72_1
.LBB72_5:
	v_mov_b32_e32 v1, s3
	v_add_co_u32_e32 v0, vcc, s2, v36
	v_addc_co_u32_e32 v1, vcc, v1, v37, vcc
	v_mov_b32_e32 v36, v28
	v_mov_b32_e32 v37, v29
	global_store_dwordx4 v[0:1], v[34:37], off
	global_store_dwordx4 v[0:1], v[18:21], off offset:16
	global_store_dwordx4 v[0:1], v[10:13], off offset:32
	;; [unrolled: 1-line block ×7, first 2 shown]
	s_endpgm
	.section	.rodata,"a",@progbits
	.p2align	6, 0x0
	.amdhsa_kernel _Z6kernelI4downdLj256ELj16ELj100EEvPKT0_PS1_
		.amdhsa_group_segment_fixed_size 2048
		.amdhsa_private_segment_fixed_size 0
		.amdhsa_kernarg_size 16
		.amdhsa_user_sgpr_count 6
		.amdhsa_user_sgpr_private_segment_buffer 1
		.amdhsa_user_sgpr_dispatch_ptr 0
		.amdhsa_user_sgpr_queue_ptr 0
		.amdhsa_user_sgpr_kernarg_segment_ptr 1
		.amdhsa_user_sgpr_dispatch_id 0
		.amdhsa_user_sgpr_flat_scratch_init 0
		.amdhsa_user_sgpr_kernarg_preload_length 0
		.amdhsa_user_sgpr_kernarg_preload_offset 0
		.amdhsa_user_sgpr_private_segment_size 0
		.amdhsa_uses_dynamic_stack 0
		.amdhsa_system_sgpr_private_segment_wavefront_offset 0
		.amdhsa_system_sgpr_workgroup_id_x 1
		.amdhsa_system_sgpr_workgroup_id_y 0
		.amdhsa_system_sgpr_workgroup_id_z 0
		.amdhsa_system_sgpr_workgroup_info 0
		.amdhsa_system_vgpr_workitem_id 0
		.amdhsa_next_free_vgpr 38
		.amdhsa_next_free_sgpr 7
		.amdhsa_accum_offset 40
		.amdhsa_reserve_vcc 1
		.amdhsa_reserve_flat_scratch 0
		.amdhsa_float_round_mode_32 0
		.amdhsa_float_round_mode_16_64 0
		.amdhsa_float_denorm_mode_32 3
		.amdhsa_float_denorm_mode_16_64 3
		.amdhsa_dx10_clamp 1
		.amdhsa_ieee_mode 1
		.amdhsa_fp16_overflow 0
		.amdhsa_tg_split 0
		.amdhsa_exception_fp_ieee_invalid_op 0
		.amdhsa_exception_fp_denorm_src 0
		.amdhsa_exception_fp_ieee_div_zero 0
		.amdhsa_exception_fp_ieee_overflow 0
		.amdhsa_exception_fp_ieee_underflow 0
		.amdhsa_exception_fp_ieee_inexact 0
		.amdhsa_exception_int_div_zero 0
	.end_amdhsa_kernel
	.section	.text._Z6kernelI4downdLj256ELj16ELj100EEvPKT0_PS1_,"axG",@progbits,_Z6kernelI4downdLj256ELj16ELj100EEvPKT0_PS1_,comdat
.Lfunc_end72:
	.size	_Z6kernelI4downdLj256ELj16ELj100EEvPKT0_PS1_, .Lfunc_end72-_Z6kernelI4downdLj256ELj16ELj100EEvPKT0_PS1_
                                        ; -- End function
	.section	.AMDGPU.csdata,"",@progbits
; Kernel info:
; codeLenInByte = 412
; NumSgprs: 11
; NumVgprs: 38
; NumAgprs: 0
; TotalNumVgprs: 38
; ScratchSize: 0
; MemoryBound: 1
; FloatMode: 240
; IeeeMode: 1
; LDSByteSize: 2048 bytes/workgroup (compile time only)
; SGPRBlocks: 1
; VGPRBlocks: 4
; NumSGPRsForWavesPerEU: 11
; NumVGPRsForWavesPerEU: 38
; AccumOffset: 40
; Occupancy: 8
; WaveLimiterHint : 0
; COMPUTE_PGM_RSRC2:SCRATCH_EN: 0
; COMPUTE_PGM_RSRC2:USER_SGPR: 6
; COMPUTE_PGM_RSRC2:TRAP_HANDLER: 0
; COMPUTE_PGM_RSRC2:TGID_X_EN: 1
; COMPUTE_PGM_RSRC2:TGID_Y_EN: 0
; COMPUTE_PGM_RSRC2:TGID_Z_EN: 0
; COMPUTE_PGM_RSRC2:TIDIG_COMP_CNT: 0
; COMPUTE_PGM_RSRC3_GFX90A:ACCUM_OFFSET: 9
; COMPUTE_PGM_RSRC3_GFX90A:TG_SPLIT: 0
	.section	.text._Z6kernelI4downdLj256ELj32ELj100EEvPKT0_PS1_,"axG",@progbits,_Z6kernelI4downdLj256ELj32ELj100EEvPKT0_PS1_,comdat
	.protected	_Z6kernelI4downdLj256ELj32ELj100EEvPKT0_PS1_ ; -- Begin function _Z6kernelI4downdLj256ELj32ELj100EEvPKT0_PS1_
	.globl	_Z6kernelI4downdLj256ELj32ELj100EEvPKT0_PS1_
	.p2align	8
	.type	_Z6kernelI4downdLj256ELj32ELj100EEvPKT0_PS1_,@function
_Z6kernelI4downdLj256ELj32ELj100EEvPKT0_PS1_: ; @_Z6kernelI4downdLj256ELj32ELj100EEvPKT0_PS1_
; %bb.0:
	s_load_dwordx4 s[0:3], s[4:5], 0x0
	v_lshlrev_b32_e32 v1, 5, v0
	v_lshl_or_b32 v2, s6, 13, v1
	v_mov_b32_e32 v3, 0
	v_lshlrev_b64 v[68:69], 3, v[2:3]
	s_waitcnt lgkmcnt(0)
	v_mov_b32_e32 v1, s1
	v_add_co_u32_e32 v62, vcc, s0, v68
	v_addc_co_u32_e32 v63, vcc, v1, v69, vcc
	global_load_dwordx4 v[2:5], v[62:63], off offset:48
	global_load_dwordx4 v[10:13], v[62:63], off offset:32
	;; [unrolled: 1-line block ×3, first 2 shown]
	global_load_dwordx4 v[42:45], v[62:63], off
	global_load_dwordx4 v[6:9], v[62:63], off offset:112
	global_load_dwordx4 v[18:21], v[62:63], off offset:96
	;; [unrolled: 1-line block ×11, first 2 shown]
	s_nop 0
	global_load_dwordx4 v[62:65], v[62:63], off offset:192
	s_movk_i32 s0, 0xff
	v_lshlrev_b32_e32 v1, 3, v0
	v_cmp_gt_u32_e32 vcc, s0, v0
	s_movk_i32 s4, 0x64
.LBB73_1:                               ; =>This Inner Loop Header: Depth=1
	s_waitcnt vmcnt(12)
	v_pk_mov_b32 v[66:67], v[44:45], v[44:45] op_sel:[0,1]
	v_pk_mov_b32 v[44:45], v[26:27], v[26:27] op_sel:[0,1]
	v_pk_mov_b32 v[26:27], v[28:29], v[28:29] op_sel:[0,1]
	v_pk_mov_b32 v[28:29], v[10:11], v[10:11] op_sel:[0,1]
	v_pk_mov_b32 v[10:11], v[12:13], v[12:13] op_sel:[0,1]
	v_pk_mov_b32 v[12:13], v[2:3], v[2:3] op_sel:[0,1]
	v_pk_mov_b32 v[2:3], v[4:5], v[4:5] op_sel:[0,1]
	s_waitcnt vmcnt(8)
	v_pk_mov_b32 v[4:5], v[50:51], v[50:51] op_sel:[0,1]
	v_pk_mov_b32 v[50:51], v[52:53], v[52:53] op_sel:[0,1]
	v_pk_mov_b32 v[52:53], v[34:35], v[34:35] op_sel:[0,1]
	v_pk_mov_b32 v[34:35], v[36:37], v[36:37] op_sel:[0,1]
	v_pk_mov_b32 v[36:37], v[18:19], v[18:19] op_sel:[0,1]
	v_pk_mov_b32 v[18:19], v[20:21], v[20:21] op_sel:[0,1]
	v_pk_mov_b32 v[20:21], v[6:7], v[6:7] op_sel:[0,1]
	v_pk_mov_b32 v[6:7], v[8:9], v[8:9] op_sel:[0,1]
	s_waitcnt vmcnt(4)
	v_pk_mov_b32 v[8:9], v[58:59], v[58:59] op_sel:[0,1]
	;; [unrolled: 9-line block ×3, first 2 shown]
	v_pk_mov_b32 v[62:63], v[64:65], v[64:65] op_sel:[0,1]
	v_pk_mov_b32 v[64:65], v[54:55], v[54:55] op_sel:[0,1]
	;; [unrolled: 1-line block ×7, first 2 shown]
	ds_write_b64 v1, v[42:43]
	s_waitcnt lgkmcnt(0)
	s_barrier
	s_and_saveexec_b64 s[0:1], vcc
	s_cbranch_execz .LBB73_3
; %bb.2:                                ;   in Loop: Header=BB73_1 Depth=1
	ds_read_b64 v[24:25], v1 offset:8
.LBB73_3:                               ;   in Loop: Header=BB73_1 Depth=1
	s_or_b64 exec, exec, s[0:1]
	s_add_i32 s4, s4, -1
	s_cmp_lg_u32 s4, 0
	s_waitcnt lgkmcnt(0)
	s_barrier
	s_cbranch_scc0 .LBB73_5
; %bb.4:                                ;   in Loop: Header=BB73_1 Depth=1
	v_pk_mov_b32 v[42:43], v[66:67], v[66:67] op_sel:[0,1]
	s_branch .LBB73_1
.LBB73_5:
	v_mov_b32_e32 v1, s3
	v_add_co_u32_e32 v0, vcc, s2, v68
	v_addc_co_u32_e32 v1, vcc, v1, v69, vcc
	v_mov_b32_e32 v68, v44
	v_mov_b32_e32 v69, v45
	global_store_dwordx4 v[0:1], v[66:69], off
	global_store_dwordx4 v[0:1], v[26:29], off offset:16
	global_store_dwordx4 v[0:1], v[10:13], off offset:32
	;; [unrolled: 1-line block ×15, first 2 shown]
	s_endpgm
	.section	.rodata,"a",@progbits
	.p2align	6, 0x0
	.amdhsa_kernel _Z6kernelI4downdLj256ELj32ELj100EEvPKT0_PS1_
		.amdhsa_group_segment_fixed_size 2048
		.amdhsa_private_segment_fixed_size 0
		.amdhsa_kernarg_size 16
		.amdhsa_user_sgpr_count 6
		.amdhsa_user_sgpr_private_segment_buffer 1
		.amdhsa_user_sgpr_dispatch_ptr 0
		.amdhsa_user_sgpr_queue_ptr 0
		.amdhsa_user_sgpr_kernarg_segment_ptr 1
		.amdhsa_user_sgpr_dispatch_id 0
		.amdhsa_user_sgpr_flat_scratch_init 0
		.amdhsa_user_sgpr_kernarg_preload_length 0
		.amdhsa_user_sgpr_kernarg_preload_offset 0
		.amdhsa_user_sgpr_private_segment_size 0
		.amdhsa_uses_dynamic_stack 0
		.amdhsa_system_sgpr_private_segment_wavefront_offset 0
		.amdhsa_system_sgpr_workgroup_id_x 1
		.amdhsa_system_sgpr_workgroup_id_y 0
		.amdhsa_system_sgpr_workgroup_id_z 0
		.amdhsa_system_sgpr_workgroup_info 0
		.amdhsa_system_vgpr_workitem_id 0
		.amdhsa_next_free_vgpr 70
		.amdhsa_next_free_sgpr 7
		.amdhsa_accum_offset 72
		.amdhsa_reserve_vcc 1
		.amdhsa_reserve_flat_scratch 0
		.amdhsa_float_round_mode_32 0
		.amdhsa_float_round_mode_16_64 0
		.amdhsa_float_denorm_mode_32 3
		.amdhsa_float_denorm_mode_16_64 3
		.amdhsa_dx10_clamp 1
		.amdhsa_ieee_mode 1
		.amdhsa_fp16_overflow 0
		.amdhsa_tg_split 0
		.amdhsa_exception_fp_ieee_invalid_op 0
		.amdhsa_exception_fp_denorm_src 0
		.amdhsa_exception_fp_ieee_div_zero 0
		.amdhsa_exception_fp_ieee_overflow 0
		.amdhsa_exception_fp_ieee_underflow 0
		.amdhsa_exception_fp_ieee_inexact 0
		.amdhsa_exception_int_div_zero 0
	.end_amdhsa_kernel
	.section	.text._Z6kernelI4downdLj256ELj32ELj100EEvPKT0_PS1_,"axG",@progbits,_Z6kernelI4downdLj256ELj32ELj100EEvPKT0_PS1_,comdat
.Lfunc_end73:
	.size	_Z6kernelI4downdLj256ELj32ELj100EEvPKT0_PS1_, .Lfunc_end73-_Z6kernelI4downdLj256ELj32ELj100EEvPKT0_PS1_
                                        ; -- End function
	.section	.AMDGPU.csdata,"",@progbits
; Kernel info:
; codeLenInByte = 680
; NumSgprs: 11
; NumVgprs: 70
; NumAgprs: 0
; TotalNumVgprs: 70
; ScratchSize: 0
; MemoryBound: 1
; FloatMode: 240
; IeeeMode: 1
; LDSByteSize: 2048 bytes/workgroup (compile time only)
; SGPRBlocks: 1
; VGPRBlocks: 8
; NumSGPRsForWavesPerEU: 11
; NumVGPRsForWavesPerEU: 70
; AccumOffset: 72
; Occupancy: 7
; WaveLimiterHint : 0
; COMPUTE_PGM_RSRC2:SCRATCH_EN: 0
; COMPUTE_PGM_RSRC2:USER_SGPR: 6
; COMPUTE_PGM_RSRC2:TRAP_HANDLER: 0
; COMPUTE_PGM_RSRC2:TGID_X_EN: 1
; COMPUTE_PGM_RSRC2:TGID_Y_EN: 0
; COMPUTE_PGM_RSRC2:TGID_Z_EN: 0
; COMPUTE_PGM_RSRC2:TIDIG_COMP_CNT: 0
; COMPUTE_PGM_RSRC3_GFX90A:ACCUM_OFFSET: 17
; COMPUTE_PGM_RSRC3_GFX90A:TG_SPLIT: 0
	.section	.text._Z6kernelI4downaLj256ELj1ELj100EEvPKT0_PS1_,"axG",@progbits,_Z6kernelI4downaLj256ELj1ELj100EEvPKT0_PS1_,comdat
	.protected	_Z6kernelI4downaLj256ELj1ELj100EEvPKT0_PS1_ ; -- Begin function _Z6kernelI4downaLj256ELj1ELj100EEvPKT0_PS1_
	.globl	_Z6kernelI4downaLj256ELj1ELj100EEvPKT0_PS1_
	.p2align	8
	.type	_Z6kernelI4downaLj256ELj1ELj100EEvPKT0_PS1_,@function
_Z6kernelI4downaLj256ELj1ELj100EEvPKT0_PS1_: ; @_Z6kernelI4downaLj256ELj1ELj100EEvPKT0_PS1_
; %bb.0:
	s_load_dwordx4 s[0:3], s[4:5], 0x0
	v_lshl_or_b32 v2, s6, 8, v0
	s_movk_i32 s4, 0x64
	s_waitcnt lgkmcnt(0)
	global_load_ubyte v1, v2, s[0:1]
	s_movk_i32 s0, 0xff
	v_cmp_gt_u32_e32 vcc, s0, v0
	s_branch .LBB74_2
.LBB74_1:                               ;   in Loop: Header=BB74_2 Depth=1
	s_or_b64 exec, exec, s[0:1]
	s_add_i32 s4, s4, -1
	s_cmp_lg_u32 s4, 0
	s_waitcnt lgkmcnt(0)
	s_barrier
	s_cbranch_scc0 .LBB74_4
.LBB74_2:                               ; =>This Inner Loop Header: Depth=1
	s_waitcnt vmcnt(0)
	ds_write_b8 v0, v1
	s_waitcnt lgkmcnt(0)
	s_barrier
	s_and_saveexec_b64 s[0:1], vcc
	s_cbranch_execz .LBB74_1
; %bb.3:                                ;   in Loop: Header=BB74_2 Depth=1
	ds_read_u8 v1, v0 offset:1
	s_branch .LBB74_1
.LBB74_4:
	v_mov_b32_e32 v0, s3
	v_add_co_u32_e32 v2, vcc, s2, v2
	v_addc_co_u32_e32 v3, vcc, 0, v0, vcc
	global_store_byte v[2:3], v1, off
	s_endpgm
	.section	.rodata,"a",@progbits
	.p2align	6, 0x0
	.amdhsa_kernel _Z6kernelI4downaLj256ELj1ELj100EEvPKT0_PS1_
		.amdhsa_group_segment_fixed_size 256
		.amdhsa_private_segment_fixed_size 0
		.amdhsa_kernarg_size 16
		.amdhsa_user_sgpr_count 6
		.amdhsa_user_sgpr_private_segment_buffer 1
		.amdhsa_user_sgpr_dispatch_ptr 0
		.amdhsa_user_sgpr_queue_ptr 0
		.amdhsa_user_sgpr_kernarg_segment_ptr 1
		.amdhsa_user_sgpr_dispatch_id 0
		.amdhsa_user_sgpr_flat_scratch_init 0
		.amdhsa_user_sgpr_kernarg_preload_length 0
		.amdhsa_user_sgpr_kernarg_preload_offset 0
		.amdhsa_user_sgpr_private_segment_size 0
		.amdhsa_uses_dynamic_stack 0
		.amdhsa_system_sgpr_private_segment_wavefront_offset 0
		.amdhsa_system_sgpr_workgroup_id_x 1
		.amdhsa_system_sgpr_workgroup_id_y 0
		.amdhsa_system_sgpr_workgroup_id_z 0
		.amdhsa_system_sgpr_workgroup_info 0
		.amdhsa_system_vgpr_workitem_id 0
		.amdhsa_next_free_vgpr 4
		.amdhsa_next_free_sgpr 7
		.amdhsa_accum_offset 4
		.amdhsa_reserve_vcc 1
		.amdhsa_reserve_flat_scratch 0
		.amdhsa_float_round_mode_32 0
		.amdhsa_float_round_mode_16_64 0
		.amdhsa_float_denorm_mode_32 3
		.amdhsa_float_denorm_mode_16_64 3
		.amdhsa_dx10_clamp 1
		.amdhsa_ieee_mode 1
		.amdhsa_fp16_overflow 0
		.amdhsa_tg_split 0
		.amdhsa_exception_fp_ieee_invalid_op 0
		.amdhsa_exception_fp_denorm_src 0
		.amdhsa_exception_fp_ieee_div_zero 0
		.amdhsa_exception_fp_ieee_overflow 0
		.amdhsa_exception_fp_ieee_underflow 0
		.amdhsa_exception_fp_ieee_inexact 0
		.amdhsa_exception_int_div_zero 0
	.end_amdhsa_kernel
	.section	.text._Z6kernelI4downaLj256ELj1ELj100EEvPKT0_PS1_,"axG",@progbits,_Z6kernelI4downaLj256ELj1ELj100EEvPKT0_PS1_,comdat
.Lfunc_end74:
	.size	_Z6kernelI4downaLj256ELj1ELj100EEvPKT0_PS1_, .Lfunc_end74-_Z6kernelI4downaLj256ELj1ELj100EEvPKT0_PS1_
                                        ; -- End function
	.section	.AMDGPU.csdata,"",@progbits
; Kernel info:
; codeLenInByte = 132
; NumSgprs: 11
; NumVgprs: 4
; NumAgprs: 0
; TotalNumVgprs: 4
; ScratchSize: 0
; MemoryBound: 0
; FloatMode: 240
; IeeeMode: 1
; LDSByteSize: 256 bytes/workgroup (compile time only)
; SGPRBlocks: 1
; VGPRBlocks: 0
; NumSGPRsForWavesPerEU: 11
; NumVGPRsForWavesPerEU: 4
; AccumOffset: 4
; Occupancy: 8
; WaveLimiterHint : 0
; COMPUTE_PGM_RSRC2:SCRATCH_EN: 0
; COMPUTE_PGM_RSRC2:USER_SGPR: 6
; COMPUTE_PGM_RSRC2:TRAP_HANDLER: 0
; COMPUTE_PGM_RSRC2:TGID_X_EN: 1
; COMPUTE_PGM_RSRC2:TGID_Y_EN: 0
; COMPUTE_PGM_RSRC2:TGID_Z_EN: 0
; COMPUTE_PGM_RSRC2:TIDIG_COMP_CNT: 0
; COMPUTE_PGM_RSRC3_GFX90A:ACCUM_OFFSET: 0
; COMPUTE_PGM_RSRC3_GFX90A:TG_SPLIT: 0
	.section	.text._Z6kernelI4downaLj256ELj3ELj100EEvPKT0_PS1_,"axG",@progbits,_Z6kernelI4downaLj256ELj3ELj100EEvPKT0_PS1_,comdat
	.protected	_Z6kernelI4downaLj256ELj3ELj100EEvPKT0_PS1_ ; -- Begin function _Z6kernelI4downaLj256ELj3ELj100EEvPKT0_PS1_
	.globl	_Z6kernelI4downaLj256ELj3ELj100EEvPKT0_PS1_
	.p2align	8
	.type	_Z6kernelI4downaLj256ELj3ELj100EEvPKT0_PS1_,@function
_Z6kernelI4downaLj256ELj3ELj100EEvPKT0_PS1_: ; @_Z6kernelI4downaLj256ELj3ELj100EEvPKT0_PS1_
; %bb.0:
	s_load_dwordx4 s[0:3], s[4:5], 0x0
	v_lshl_or_b32 v1, s6, 8, v0
	v_lshl_add_u32 v6, v1, 1, v1
	v_add_u32_e32 v4, 1, v6
	v_add_u32_e32 v2, 2, v6
	s_waitcnt lgkmcnt(0)
	global_load_ubyte v1, v4, s[0:1]
	global_load_ubyte v3, v6, s[0:1]
	global_load_ubyte v5, v2, s[0:1]
	s_movk_i32 s0, 0xff
	s_movk_i32 s4, 0x64
	s_mov_b32 s5, 0x7060605
	s_mov_b32 s6, 0xff0000
	v_cmp_gt_u32_e32 vcc, s0, v0
	s_waitcnt vmcnt(2)
	v_lshlrev_b16_e32 v1, 8, v1
	s_waitcnt vmcnt(1)
	v_or_b32_e32 v1, v3, v1
	v_and_b32_e32 v1, 0xffff, v1
	s_waitcnt vmcnt(0)
	v_lshl_or_b32 v1, v5, 16, v1
	v_mov_b32_e32 v3, 8
	s_branch .LBB75_2
.LBB75_1:                               ;   in Loop: Header=BB75_2 Depth=1
	s_or_b64 exec, exec, s[0:1]
	s_add_i32 s4, s4, -1
	s_cmp_lg_u32 s4, 0
	s_barrier
	s_cbranch_scc0 .LBB75_4
.LBB75_2:                               ; =>This Inner Loop Header: Depth=1
	v_perm_b32 v5, v1, v1, s5
	v_lshrrev_b32_sdwa v7, v3, v5 dst_sel:BYTE_1 dst_unused:UNUSED_PAD src0_sel:DWORD src1_sel:DWORD
	v_or_b32_sdwa v5, v5, v7 dst_sel:DWORD dst_unused:UNUSED_PAD src0_sel:BYTE_0 src1_sel:DWORD
	v_and_b32_e32 v5, 0xffff, v5
	ds_write_b8 v0, v1
	v_and_or_b32 v1, v1, s6, v5
	s_waitcnt lgkmcnt(0)
	s_barrier
	s_and_saveexec_b64 s[0:1], vcc
	s_cbranch_execz .LBB75_1
; %bb.3:                                ;   in Loop: Header=BB75_2 Depth=1
	ds_read_u8 v5, v0 offset:1
	v_lshrrev_b32_sdwa v7, v3, v1 dst_sel:BYTE_1 dst_unused:UNUSED_PAD src0_sel:DWORD src1_sel:DWORD
	v_or_b32_sdwa v1, v1, v7 dst_sel:DWORD dst_unused:UNUSED_PAD src0_sel:BYTE_0 src1_sel:DWORD
	v_and_b32_e32 v1, 0xffff, v1
	s_waitcnt lgkmcnt(0)
	v_lshl_or_b32 v1, v5, 16, v1
	s_branch .LBB75_1
.LBB75_4:
	v_mov_b32_e32 v0, s3
	v_add_co_u32_e32 v6, vcc, s2, v6
	v_addc_co_u32_e32 v7, vcc, 0, v0, vcc
	v_mov_b32_e32 v3, s3
	v_add_co_u32_e32 v4, vcc, s2, v4
	v_lshrrev_b32_e32 v0, 8, v1
	v_addc_co_u32_e32 v5, vcc, 0, v3, vcc
	global_store_byte v[4:5], v0, off
	v_mov_b32_e32 v0, s3
	v_add_co_u32_e32 v2, vcc, s2, v2
	v_addc_co_u32_e32 v3, vcc, 0, v0, vcc
	global_store_byte v[6:7], v1, off
	global_store_byte_d16_hi v[2:3], v1, off
	s_endpgm
	.section	.rodata,"a",@progbits
	.p2align	6, 0x0
	.amdhsa_kernel _Z6kernelI4downaLj256ELj3ELj100EEvPKT0_PS1_
		.amdhsa_group_segment_fixed_size 256
		.amdhsa_private_segment_fixed_size 0
		.amdhsa_kernarg_size 16
		.amdhsa_user_sgpr_count 6
		.amdhsa_user_sgpr_private_segment_buffer 1
		.amdhsa_user_sgpr_dispatch_ptr 0
		.amdhsa_user_sgpr_queue_ptr 0
		.amdhsa_user_sgpr_kernarg_segment_ptr 1
		.amdhsa_user_sgpr_dispatch_id 0
		.amdhsa_user_sgpr_flat_scratch_init 0
		.amdhsa_user_sgpr_kernarg_preload_length 0
		.amdhsa_user_sgpr_kernarg_preload_offset 0
		.amdhsa_user_sgpr_private_segment_size 0
		.amdhsa_uses_dynamic_stack 0
		.amdhsa_system_sgpr_private_segment_wavefront_offset 0
		.amdhsa_system_sgpr_workgroup_id_x 1
		.amdhsa_system_sgpr_workgroup_id_y 0
		.amdhsa_system_sgpr_workgroup_id_z 0
		.amdhsa_system_sgpr_workgroup_info 0
		.amdhsa_system_vgpr_workitem_id 0
		.amdhsa_next_free_vgpr 8
		.amdhsa_next_free_sgpr 7
		.amdhsa_accum_offset 8
		.amdhsa_reserve_vcc 1
		.amdhsa_reserve_flat_scratch 0
		.amdhsa_float_round_mode_32 0
		.amdhsa_float_round_mode_16_64 0
		.amdhsa_float_denorm_mode_32 3
		.amdhsa_float_denorm_mode_16_64 3
		.amdhsa_dx10_clamp 1
		.amdhsa_ieee_mode 1
		.amdhsa_fp16_overflow 0
		.amdhsa_tg_split 0
		.amdhsa_exception_fp_ieee_invalid_op 0
		.amdhsa_exception_fp_denorm_src 0
		.amdhsa_exception_fp_ieee_div_zero 0
		.amdhsa_exception_fp_ieee_overflow 0
		.amdhsa_exception_fp_ieee_underflow 0
		.amdhsa_exception_fp_ieee_inexact 0
		.amdhsa_exception_int_div_zero 0
	.end_amdhsa_kernel
	.section	.text._Z6kernelI4downaLj256ELj3ELj100EEvPKT0_PS1_,"axG",@progbits,_Z6kernelI4downaLj256ELj3ELj100EEvPKT0_PS1_,comdat
.Lfunc_end75:
	.size	_Z6kernelI4downaLj256ELj3ELj100EEvPKT0_PS1_, .Lfunc_end75-_Z6kernelI4downaLj256ELj3ELj100EEvPKT0_PS1_
                                        ; -- End function
	.section	.AMDGPU.csdata,"",@progbits
; Kernel info:
; codeLenInByte = 332
; NumSgprs: 11
; NumVgprs: 8
; NumAgprs: 0
; TotalNumVgprs: 8
; ScratchSize: 0
; MemoryBound: 0
; FloatMode: 240
; IeeeMode: 1
; LDSByteSize: 256 bytes/workgroup (compile time only)
; SGPRBlocks: 1
; VGPRBlocks: 0
; NumSGPRsForWavesPerEU: 11
; NumVGPRsForWavesPerEU: 8
; AccumOffset: 8
; Occupancy: 8
; WaveLimiterHint : 0
; COMPUTE_PGM_RSRC2:SCRATCH_EN: 0
; COMPUTE_PGM_RSRC2:USER_SGPR: 6
; COMPUTE_PGM_RSRC2:TRAP_HANDLER: 0
; COMPUTE_PGM_RSRC2:TGID_X_EN: 1
; COMPUTE_PGM_RSRC2:TGID_Y_EN: 0
; COMPUTE_PGM_RSRC2:TGID_Z_EN: 0
; COMPUTE_PGM_RSRC2:TIDIG_COMP_CNT: 0
; COMPUTE_PGM_RSRC3_GFX90A:ACCUM_OFFSET: 1
; COMPUTE_PGM_RSRC3_GFX90A:TG_SPLIT: 0
	.section	.text._Z6kernelI4downaLj256ELj4ELj100EEvPKT0_PS1_,"axG",@progbits,_Z6kernelI4downaLj256ELj4ELj100EEvPKT0_PS1_,comdat
	.protected	_Z6kernelI4downaLj256ELj4ELj100EEvPKT0_PS1_ ; -- Begin function _Z6kernelI4downaLj256ELj4ELj100EEvPKT0_PS1_
	.globl	_Z6kernelI4downaLj256ELj4ELj100EEvPKT0_PS1_
	.p2align	8
	.type	_Z6kernelI4downaLj256ELj4ELj100EEvPKT0_PS1_,@function
_Z6kernelI4downaLj256ELj4ELj100EEvPKT0_PS1_: ; @_Z6kernelI4downaLj256ELj4ELj100EEvPKT0_PS1_
; %bb.0:
	s_load_dwordx4 s[0:3], s[4:5], 0x0
	v_lshlrev_b32_e32 v1, 2, v0
	v_lshl_or_b32 v2, s6, 10, v1
	s_movk_i32 s4, 0x64
	s_mov_b32 s5, 0x7070605
	s_waitcnt lgkmcnt(0)
	global_load_dword v1, v2, s[0:1]
	s_movk_i32 s0, 0xff
	v_cmp_gt_u32_e32 vcc, s0, v0
	s_mov_b32 s6, 0x60504
	s_branch .LBB76_2
.LBB76_1:                               ;   in Loop: Header=BB76_2 Depth=1
	s_or_b64 exec, exec, s[0:1]
	s_add_i32 s4, s4, -1
	s_cmp_lg_u32 s4, 0
	s_barrier
	s_cbranch_scc0 .LBB76_4
.LBB76_2:                               ; =>This Inner Loop Header: Depth=1
	s_waitcnt vmcnt(0)
	ds_write_b8 v0, v1
	v_perm_b32 v1, v1, v1, s5
	s_waitcnt lgkmcnt(0)
	s_barrier
	s_and_saveexec_b64 s[0:1], vcc
	s_cbranch_execz .LBB76_1
; %bb.3:                                ;   in Loop: Header=BB76_2 Depth=1
	ds_read_u8 v3, v0 offset:1
	s_waitcnt lgkmcnt(0)
	v_perm_b32 v1, v1, v3, s6
	s_branch .LBB76_1
.LBB76_4:
	v_mov_b32_e32 v0, s3
	v_add_co_u32_e32 v2, vcc, s2, v2
	v_addc_co_u32_e32 v3, vcc, 0, v0, vcc
	global_store_dword v[2:3], v1, off
	s_endpgm
	.section	.rodata,"a",@progbits
	.p2align	6, 0x0
	.amdhsa_kernel _Z6kernelI4downaLj256ELj4ELj100EEvPKT0_PS1_
		.amdhsa_group_segment_fixed_size 256
		.amdhsa_private_segment_fixed_size 0
		.amdhsa_kernarg_size 16
		.amdhsa_user_sgpr_count 6
		.amdhsa_user_sgpr_private_segment_buffer 1
		.amdhsa_user_sgpr_dispatch_ptr 0
		.amdhsa_user_sgpr_queue_ptr 0
		.amdhsa_user_sgpr_kernarg_segment_ptr 1
		.amdhsa_user_sgpr_dispatch_id 0
		.amdhsa_user_sgpr_flat_scratch_init 0
		.amdhsa_user_sgpr_kernarg_preload_length 0
		.amdhsa_user_sgpr_kernarg_preload_offset 0
		.amdhsa_user_sgpr_private_segment_size 0
		.amdhsa_uses_dynamic_stack 0
		.amdhsa_system_sgpr_private_segment_wavefront_offset 0
		.amdhsa_system_sgpr_workgroup_id_x 1
		.amdhsa_system_sgpr_workgroup_id_y 0
		.amdhsa_system_sgpr_workgroup_id_z 0
		.amdhsa_system_sgpr_workgroup_info 0
		.amdhsa_system_vgpr_workitem_id 0
		.amdhsa_next_free_vgpr 4
		.amdhsa_next_free_sgpr 7
		.amdhsa_accum_offset 4
		.amdhsa_reserve_vcc 1
		.amdhsa_reserve_flat_scratch 0
		.amdhsa_float_round_mode_32 0
		.amdhsa_float_round_mode_16_64 0
		.amdhsa_float_denorm_mode_32 3
		.amdhsa_float_denorm_mode_16_64 3
		.amdhsa_dx10_clamp 1
		.amdhsa_ieee_mode 1
		.amdhsa_fp16_overflow 0
		.amdhsa_tg_split 0
		.amdhsa_exception_fp_ieee_invalid_op 0
		.amdhsa_exception_fp_denorm_src 0
		.amdhsa_exception_fp_ieee_div_zero 0
		.amdhsa_exception_fp_ieee_overflow 0
		.amdhsa_exception_fp_ieee_underflow 0
		.amdhsa_exception_fp_ieee_inexact 0
		.amdhsa_exception_int_div_zero 0
	.end_amdhsa_kernel
	.section	.text._Z6kernelI4downaLj256ELj4ELj100EEvPKT0_PS1_,"axG",@progbits,_Z6kernelI4downaLj256ELj4ELj100EEvPKT0_PS1_,comdat
.Lfunc_end76:
	.size	_Z6kernelI4downaLj256ELj4ELj100EEvPKT0_PS1_, .Lfunc_end76-_Z6kernelI4downaLj256ELj4ELj100EEvPKT0_PS1_
                                        ; -- End function
	.section	.AMDGPU.csdata,"",@progbits
; Kernel info:
; codeLenInByte = 168
; NumSgprs: 11
; NumVgprs: 4
; NumAgprs: 0
; TotalNumVgprs: 4
; ScratchSize: 0
; MemoryBound: 0
; FloatMode: 240
; IeeeMode: 1
; LDSByteSize: 256 bytes/workgroup (compile time only)
; SGPRBlocks: 1
; VGPRBlocks: 0
; NumSGPRsForWavesPerEU: 11
; NumVGPRsForWavesPerEU: 4
; AccumOffset: 4
; Occupancy: 8
; WaveLimiterHint : 0
; COMPUTE_PGM_RSRC2:SCRATCH_EN: 0
; COMPUTE_PGM_RSRC2:USER_SGPR: 6
; COMPUTE_PGM_RSRC2:TRAP_HANDLER: 0
; COMPUTE_PGM_RSRC2:TGID_X_EN: 1
; COMPUTE_PGM_RSRC2:TGID_Y_EN: 0
; COMPUTE_PGM_RSRC2:TGID_Z_EN: 0
; COMPUTE_PGM_RSRC2:TIDIG_COMP_CNT: 0
; COMPUTE_PGM_RSRC3_GFX90A:ACCUM_OFFSET: 0
; COMPUTE_PGM_RSRC3_GFX90A:TG_SPLIT: 0
	.section	.text._Z6kernelI4downaLj256ELj8ELj100EEvPKT0_PS1_,"axG",@progbits,_Z6kernelI4downaLj256ELj8ELj100EEvPKT0_PS1_,comdat
	.protected	_Z6kernelI4downaLj256ELj8ELj100EEvPKT0_PS1_ ; -- Begin function _Z6kernelI4downaLj256ELj8ELj100EEvPKT0_PS1_
	.globl	_Z6kernelI4downaLj256ELj8ELj100EEvPKT0_PS1_
	.p2align	8
	.type	_Z6kernelI4downaLj256ELj8ELj100EEvPKT0_PS1_,@function
_Z6kernelI4downaLj256ELj8ELj100EEvPKT0_PS1_: ; @_Z6kernelI4downaLj256ELj8ELj100EEvPKT0_PS1_
; %bb.0:
	s_load_dwordx4 s[0:3], s[4:5], 0x0
	v_lshlrev_b32_e32 v1, 3, v0
	v_lshl_or_b32 v4, s6, 11, v1
	s_movk_i32 s4, 0x64
	s_mov_b32 s5, 0x70605
	s_waitcnt lgkmcnt(0)
	global_load_dwordx2 v[2:3], v4, s[0:1]
	s_movk_i32 s0, 0xff
	v_cmp_gt_u32_e32 vcc, s0, v0
	s_mov_b32 s6, 0x7070605
	s_mov_b32 s7, 0x3020104
	;; [unrolled: 1-line block ×3, first 2 shown]
	s_branch .LBB77_2
.LBB77_1:                               ;   in Loop: Header=BB77_2 Depth=1
	s_or_b64 exec, exec, s[0:1]
	s_add_i32 s4, s4, -1
	s_cmp_lg_u32 s4, 0
	s_barrier
	s_cbranch_scc0 .LBB77_4
.LBB77_2:                               ; =>This Inner Loop Header: Depth=1
	s_waitcnt vmcnt(0)
	ds_write_b8 v0, v2
	v_perm_b32 v2, v2, v3, s5
	v_perm_b32 v3, v3, v3, s6
	s_waitcnt lgkmcnt(0)
	s_barrier
	s_and_saveexec_b64 s[0:1], vcc
	s_cbranch_execz .LBB77_1
; %bb.3:                                ;   in Loop: Header=BB77_2 Depth=1
	ds_read_u8 v1, v0 offset:1
	v_perm_b32 v2, v2, v2, s7
	s_waitcnt lgkmcnt(0)
	v_perm_b32 v3, v3, v1, s8
	s_branch .LBB77_1
.LBB77_4:
	v_mov_b32_e32 v1, s3
	v_add_co_u32_e32 v0, vcc, s2, v4
	v_addc_co_u32_e32 v1, vcc, 0, v1, vcc
	global_store_dwordx2 v[0:1], v[2:3], off
	s_endpgm
	.section	.rodata,"a",@progbits
	.p2align	6, 0x0
	.amdhsa_kernel _Z6kernelI4downaLj256ELj8ELj100EEvPKT0_PS1_
		.amdhsa_group_segment_fixed_size 256
		.amdhsa_private_segment_fixed_size 0
		.amdhsa_kernarg_size 16
		.amdhsa_user_sgpr_count 6
		.amdhsa_user_sgpr_private_segment_buffer 1
		.amdhsa_user_sgpr_dispatch_ptr 0
		.amdhsa_user_sgpr_queue_ptr 0
		.amdhsa_user_sgpr_kernarg_segment_ptr 1
		.amdhsa_user_sgpr_dispatch_id 0
		.amdhsa_user_sgpr_flat_scratch_init 0
		.amdhsa_user_sgpr_kernarg_preload_length 0
		.amdhsa_user_sgpr_kernarg_preload_offset 0
		.amdhsa_user_sgpr_private_segment_size 0
		.amdhsa_uses_dynamic_stack 0
		.amdhsa_system_sgpr_private_segment_wavefront_offset 0
		.amdhsa_system_sgpr_workgroup_id_x 1
		.amdhsa_system_sgpr_workgroup_id_y 0
		.amdhsa_system_sgpr_workgroup_id_z 0
		.amdhsa_system_sgpr_workgroup_info 0
		.amdhsa_system_vgpr_workitem_id 0
		.amdhsa_next_free_vgpr 5
		.amdhsa_next_free_sgpr 9
		.amdhsa_accum_offset 8
		.amdhsa_reserve_vcc 1
		.amdhsa_reserve_flat_scratch 0
		.amdhsa_float_round_mode_32 0
		.amdhsa_float_round_mode_16_64 0
		.amdhsa_float_denorm_mode_32 3
		.amdhsa_float_denorm_mode_16_64 3
		.amdhsa_dx10_clamp 1
		.amdhsa_ieee_mode 1
		.amdhsa_fp16_overflow 0
		.amdhsa_tg_split 0
		.amdhsa_exception_fp_ieee_invalid_op 0
		.amdhsa_exception_fp_denorm_src 0
		.amdhsa_exception_fp_ieee_div_zero 0
		.amdhsa_exception_fp_ieee_overflow 0
		.amdhsa_exception_fp_ieee_underflow 0
		.amdhsa_exception_fp_ieee_inexact 0
		.amdhsa_exception_int_div_zero 0
	.end_amdhsa_kernel
	.section	.text._Z6kernelI4downaLj256ELj8ELj100EEvPKT0_PS1_,"axG",@progbits,_Z6kernelI4downaLj256ELj8ELj100EEvPKT0_PS1_,comdat
.Lfunc_end77:
	.size	_Z6kernelI4downaLj256ELj8ELj100EEvPKT0_PS1_, .Lfunc_end77-_Z6kernelI4downaLj256ELj8ELj100EEvPKT0_PS1_
                                        ; -- End function
	.section	.AMDGPU.csdata,"",@progbits
; Kernel info:
; codeLenInByte = 200
; NumSgprs: 13
; NumVgprs: 5
; NumAgprs: 0
; TotalNumVgprs: 5
; ScratchSize: 0
; MemoryBound: 0
; FloatMode: 240
; IeeeMode: 1
; LDSByteSize: 256 bytes/workgroup (compile time only)
; SGPRBlocks: 1
; VGPRBlocks: 0
; NumSGPRsForWavesPerEU: 13
; NumVGPRsForWavesPerEU: 5
; AccumOffset: 8
; Occupancy: 8
; WaveLimiterHint : 0
; COMPUTE_PGM_RSRC2:SCRATCH_EN: 0
; COMPUTE_PGM_RSRC2:USER_SGPR: 6
; COMPUTE_PGM_RSRC2:TRAP_HANDLER: 0
; COMPUTE_PGM_RSRC2:TGID_X_EN: 1
; COMPUTE_PGM_RSRC2:TGID_Y_EN: 0
; COMPUTE_PGM_RSRC2:TGID_Z_EN: 0
; COMPUTE_PGM_RSRC2:TIDIG_COMP_CNT: 0
; COMPUTE_PGM_RSRC3_GFX90A:ACCUM_OFFSET: 1
; COMPUTE_PGM_RSRC3_GFX90A:TG_SPLIT: 0
	.section	.text._Z6kernelI4downaLj256ELj16ELj100EEvPKT0_PS1_,"axG",@progbits,_Z6kernelI4downaLj256ELj16ELj100EEvPKT0_PS1_,comdat
	.protected	_Z6kernelI4downaLj256ELj16ELj100EEvPKT0_PS1_ ; -- Begin function _Z6kernelI4downaLj256ELj16ELj100EEvPKT0_PS1_
	.globl	_Z6kernelI4downaLj256ELj16ELj100EEvPKT0_PS1_
	.p2align	8
	.type	_Z6kernelI4downaLj256ELj16ELj100EEvPKT0_PS1_,@function
_Z6kernelI4downaLj256ELj16ELj100EEvPKT0_PS1_: ; @_Z6kernelI4downaLj256ELj16ELj100EEvPKT0_PS1_
; %bb.0:
	s_load_dwordx4 s[0:3], s[4:5], 0x0
	v_lshlrev_b32_e32 v1, 4, v0
	v_lshl_or_b32 v6, s6, 12, v1
	s_movk_i32 s4, 0x64
	s_mov_b32 s5, 0x70605
	s_waitcnt lgkmcnt(0)
	global_load_dwordx4 v[2:5], v6, s[0:1]
	s_movk_i32 s0, 0xff
	v_cmp_gt_u32_e32 vcc, s0, v0
	s_mov_b32 s6, 0x7070605
	s_mov_b32 s7, 0x3070105
	;; [unrolled: 1-line block ×3, first 2 shown]
	s_branch .LBB78_2
.LBB78_1:                               ;   in Loop: Header=BB78_2 Depth=1
	s_or_b64 exec, exec, s[0:1]
	s_add_i32 s4, s4, -1
	s_cmp_lg_u32 s4, 0
	s_barrier
	s_cbranch_scc0 .LBB78_4
.LBB78_2:                               ; =>This Inner Loop Header: Depth=1
	s_waitcnt vmcnt(0)
	v_perm_b32 v1, v2, v3, s5
	v_perm_b32 v7, v4, v5, s5
	ds_write_b8 v0, v2
	v_perm_b32 v3, v3, v4, s5
	v_perm_b32 v5, v5, v5, s6
	;; [unrolled: 1-line block ×4, first 2 shown]
	s_waitcnt lgkmcnt(0)
	s_barrier
	s_and_saveexec_b64 s[0:1], vcc
	s_cbranch_execz .LBB78_1
; %bb.3:                                ;   in Loop: Header=BB78_2 Depth=1
	ds_read_u8 v4, v0 offset:1
	v_mov_b32_e32 v2, v1
	s_waitcnt lgkmcnt(0)
	v_perm_b32 v5, v5, v4, s8
	v_mov_b32_e32 v4, v7
	s_branch .LBB78_1
.LBB78_4:
	v_mov_b32_e32 v1, s3
	v_add_co_u32_e32 v0, vcc, s2, v6
	v_addc_co_u32_e32 v1, vcc, 0, v1, vcc
	global_store_dwordx4 v[0:1], v[2:5], off
	s_endpgm
	.section	.rodata,"a",@progbits
	.p2align	6, 0x0
	.amdhsa_kernel _Z6kernelI4downaLj256ELj16ELj100EEvPKT0_PS1_
		.amdhsa_group_segment_fixed_size 256
		.amdhsa_private_segment_fixed_size 0
		.amdhsa_kernarg_size 16
		.amdhsa_user_sgpr_count 6
		.amdhsa_user_sgpr_private_segment_buffer 1
		.amdhsa_user_sgpr_dispatch_ptr 0
		.amdhsa_user_sgpr_queue_ptr 0
		.amdhsa_user_sgpr_kernarg_segment_ptr 1
		.amdhsa_user_sgpr_dispatch_id 0
		.amdhsa_user_sgpr_flat_scratch_init 0
		.amdhsa_user_sgpr_kernarg_preload_length 0
		.amdhsa_user_sgpr_kernarg_preload_offset 0
		.amdhsa_user_sgpr_private_segment_size 0
		.amdhsa_uses_dynamic_stack 0
		.amdhsa_system_sgpr_private_segment_wavefront_offset 0
		.amdhsa_system_sgpr_workgroup_id_x 1
		.amdhsa_system_sgpr_workgroup_id_y 0
		.amdhsa_system_sgpr_workgroup_id_z 0
		.amdhsa_system_sgpr_workgroup_info 0
		.amdhsa_system_vgpr_workitem_id 0
		.amdhsa_next_free_vgpr 8
		.amdhsa_next_free_sgpr 9
		.amdhsa_accum_offset 8
		.amdhsa_reserve_vcc 1
		.amdhsa_reserve_flat_scratch 0
		.amdhsa_float_round_mode_32 0
		.amdhsa_float_round_mode_16_64 0
		.amdhsa_float_denorm_mode_32 3
		.amdhsa_float_denorm_mode_16_64 3
		.amdhsa_dx10_clamp 1
		.amdhsa_ieee_mode 1
		.amdhsa_fp16_overflow 0
		.amdhsa_tg_split 0
		.amdhsa_exception_fp_ieee_invalid_op 0
		.amdhsa_exception_fp_denorm_src 0
		.amdhsa_exception_fp_ieee_div_zero 0
		.amdhsa_exception_fp_ieee_overflow 0
		.amdhsa_exception_fp_ieee_underflow 0
		.amdhsa_exception_fp_ieee_inexact 0
		.amdhsa_exception_int_div_zero 0
	.end_amdhsa_kernel
	.section	.text._Z6kernelI4downaLj256ELj16ELj100EEvPKT0_PS1_,"axG",@progbits,_Z6kernelI4downaLj256ELj16ELj100EEvPKT0_PS1_,comdat
.Lfunc_end78:
	.size	_Z6kernelI4downaLj256ELj16ELj100EEvPKT0_PS1_, .Lfunc_end78-_Z6kernelI4downaLj256ELj16ELj100EEvPKT0_PS1_
                                        ; -- End function
	.section	.AMDGPU.csdata,"",@progbits
; Kernel info:
; codeLenInByte = 232
; NumSgprs: 13
; NumVgprs: 8
; NumAgprs: 0
; TotalNumVgprs: 8
; ScratchSize: 0
; MemoryBound: 0
; FloatMode: 240
; IeeeMode: 1
; LDSByteSize: 256 bytes/workgroup (compile time only)
; SGPRBlocks: 1
; VGPRBlocks: 0
; NumSGPRsForWavesPerEU: 13
; NumVGPRsForWavesPerEU: 8
; AccumOffset: 8
; Occupancy: 8
; WaveLimiterHint : 0
; COMPUTE_PGM_RSRC2:SCRATCH_EN: 0
; COMPUTE_PGM_RSRC2:USER_SGPR: 6
; COMPUTE_PGM_RSRC2:TRAP_HANDLER: 0
; COMPUTE_PGM_RSRC2:TGID_X_EN: 1
; COMPUTE_PGM_RSRC2:TGID_Y_EN: 0
; COMPUTE_PGM_RSRC2:TGID_Z_EN: 0
; COMPUTE_PGM_RSRC2:TIDIG_COMP_CNT: 0
; COMPUTE_PGM_RSRC3_GFX90A:ACCUM_OFFSET: 1
; COMPUTE_PGM_RSRC3_GFX90A:TG_SPLIT: 0
	.section	.text._Z6kernelI4downaLj256ELj32ELj100EEvPKT0_PS1_,"axG",@progbits,_Z6kernelI4downaLj256ELj32ELj100EEvPKT0_PS1_,comdat
	.protected	_Z6kernelI4downaLj256ELj32ELj100EEvPKT0_PS1_ ; -- Begin function _Z6kernelI4downaLj256ELj32ELj100EEvPKT0_PS1_
	.globl	_Z6kernelI4downaLj256ELj32ELj100EEvPKT0_PS1_
	.p2align	8
	.type	_Z6kernelI4downaLj256ELj32ELj100EEvPKT0_PS1_,@function
_Z6kernelI4downaLj256ELj32ELj100EEvPKT0_PS1_: ; @_Z6kernelI4downaLj256ELj32ELj100EEvPKT0_PS1_
; %bb.0:
	s_load_dwordx4 s[0:3], s[4:5], 0x0
	v_lshlrev_b32_e32 v1, 5, v0
	v_lshl_or_b32 v8, s6, 13, v1
	s_mov_b32 s4, 0x70605
	s_movk_i32 s5, 0x64
	s_waitcnt lgkmcnt(0)
	global_load_ushort v6, v8, s[0:1] offset:29
	global_load_dwordx2 v[10:11], v8, s[0:1]
	global_load_sbyte v7, v8, s[0:1] offset:8
	global_load_dword v1, v8, s[0:1] offset:25
	global_load_sbyte v12, v8, s[0:1] offset:31
	global_load_dwordx4 v[2:5], v8, s[0:1] offset:9
	s_movk_i32 s0, 0xff
	v_cmp_gt_u32_e32 vcc, s0, v0
	s_waitcnt vmcnt(5)
	v_and_b32_e32 v9, 0xffff, v6
	s_waitcnt vmcnt(4)
	v_perm_b32 v6, v10, v11, s4
	s_waitcnt vmcnt(3)
	v_perm_b32 v7, v11, v7, s4
	;; [unrolled: 2-line block ×3, first 2 shown]
	v_lshrrev_b32_e32 v13, 8, v9
	v_mov_b32_e32 v9, 8
.LBB79_1:                               ; =>This Inner Loop Header: Depth=1
	s_waitcnt vmcnt(1)
	v_mov_b32_e32 v14, v12
	ds_write_b8 v0, v10
	s_waitcnt lgkmcnt(0)
	s_barrier
	s_and_saveexec_b64 s[0:1], vcc
	s_cbranch_execz .LBB79_3
; %bb.2:                                ;   in Loop: Header=BB79_1 Depth=1
	ds_read_u8 v12, v0 offset:1
.LBB79_3:                               ;   in Loop: Header=BB79_1 Depth=1
	s_or_b64 exec, exec, s[0:1]
	s_waitcnt vmcnt(0)
	v_lshrrev_b32_e32 v10, 16, v4
	v_lshlrev_b16_e32 v20, 8, v10
	v_lshrrev_b32_e32 v10, 16, v5
	v_lshlrev_b16_e32 v17, 8, v10
	;; [unrolled: 2-line block ×4, first 2 shown]
	v_lshlrev_b16_e32 v22, 8, v10
	v_lshlrev_b16_e32 v18, 8, v4
	v_lshrrev_b32_sdwa v23, v9, v16 dst_sel:BYTE_1 dst_unused:UNUSED_PAD src0_sel:DWORD src1_sel:DWORD
	v_lshrrev_b32_sdwa v22, v9, v22 dst_sel:BYTE_1 dst_unused:UNUSED_PAD src0_sel:DWORD src1_sel:DWORD
	v_lshlrev_b16_e32 v21, 8, v5
	v_lshrrev_b32_sdwa v24, v9, v18 dst_sel:BYTE_1 dst_unused:UNUSED_PAD src0_sel:DWORD src1_sel:DWORD
	v_lshrrev_b32_sdwa v19, v9, v19 dst_sel:BYTE_1 dst_unused:UNUSED_PAD src0_sel:DWORD src1_sel:DWORD
	v_or_b32_sdwa v18, v7, v22 dst_sel:DWORD dst_unused:UNUSED_PAD src0_sel:BYTE_1 src1_sel:DWORD
	v_or_b32_sdwa v22, v7, v23 dst_sel:WORD_1 dst_unused:UNUSED_PAD src0_sel:BYTE_3 src1_sel:DWORD
	v_or_b32_sdwa v18, v18, v22 dst_sel:DWORD dst_unused:UNUSED_PAD src0_sel:WORD_0 src1_sel:DWORD
	v_or_b32_sdwa v19, v3, v19 dst_sel:DWORD dst_unused:UNUSED_PAD src0_sel:BYTE_1 src1_sel:DWORD
	v_or_b32_sdwa v22, v3, v24 dst_sel:WORD_1 dst_unused:UNUSED_PAD src0_sel:BYTE_3 src1_sel:DWORD
	v_lshrrev_b32_sdwa v20, v9, v20 dst_sel:BYTE_1 dst_unused:UNUSED_PAD src0_sel:DWORD src1_sel:DWORD
	v_lshrrev_b32_sdwa v21, v9, v21 dst_sel:BYTE_1 dst_unused:UNUSED_PAD src0_sel:DWORD src1_sel:DWORD
	;; [unrolled: 1-line block ×3, first 2 shown]
	v_or_b32_sdwa v19, v19, v22 dst_sel:DWORD dst_unused:UNUSED_PAD src0_sel:WORD_0 src1_sel:DWORD
	v_or_b32_sdwa v20, v4, v20 dst_sel:DWORD dst_unused:UNUSED_PAD src0_sel:BYTE_1 src1_sel:DWORD
	v_or_b32_sdwa v21, v4, v21 dst_sel:WORD_1 dst_unused:UNUSED_PAD src0_sel:BYTE_3 src1_sel:DWORD
	v_lshlrev_b16_e32 v22, 8, v1
	v_or_b32_sdwa v20, v20, v21 dst_sel:DWORD dst_unused:UNUSED_PAD src0_sel:WORD_0 src1_sel:DWORD
	v_or_b32_sdwa v21, v5, v25 dst_sel:DWORD dst_unused:UNUSED_PAD src0_sel:BYTE_1 src1_sel:DWORD
	v_or_b32_sdwa v22, v5, v22 dst_sel:WORD_1 dst_unused:UNUSED_PAD src0_sel:BYTE_3 src1_sel:DWORD
	s_add_i32 s5, s5, -1
	v_perm_b32 v15, v6, v7, s4
	v_perm_b32 v16, v2, v3, s4
	;; [unrolled: 1-line block ×3, first 2 shown]
	s_cmp_lg_u32 s5, 0
	v_or_b32_sdwa v21, v21, v22 dst_sel:DWORD dst_unused:UNUSED_PAD src0_sel:WORD_0 src1_sel:DWORD
	s_waitcnt lgkmcnt(0)
	s_barrier
	s_cbranch_scc0 .LBB79_5
; %bb.4:                                ;   in Loop: Header=BB79_1 Depth=1
	v_mov_b32_e32 v10, v6
	v_mov_b32_e32 v13, v14
	;; [unrolled: 1-line block ×10, first 2 shown]
	s_branch .LBB79_1
.LBB79_5:
	v_mov_b32_e32 v0, s3
	v_add_co_u32_e32 v16, vcc, s2, v8
	v_addc_co_u32_e32 v17, vcc, 0, v0, vcc
	v_mov_b32_e32 v8, v2
	v_lshlrev_b16_e32 v0, 8, v13
	v_lshlrev_b16_e32 v2, 8, v12
	v_or_b32_sdwa v0, v11, v0 dst_sel:DWORD dst_unused:UNUSED_PAD src0_sel:BYTE_3 src1_sel:DWORD
	v_or_b32_sdwa v2, v14, v2 dst_sel:WORD_1 dst_unused:UNUSED_PAD src0_sel:BYTE_0 src1_sel:DWORD
	s_mov_b32 s0, 0x2010004
	v_mov_b32_e32 v9, v3
	v_or_b32_sdwa v3, v0, v2 dst_sel:DWORD dst_unused:UNUSED_PAD src0_sel:WORD_0 src1_sel:DWORD
	v_perm_b32 v2, v1, v11, s0
	v_mov_b32_e32 v0, v4
	v_mov_b32_e32 v1, v5
	global_store_dwordx4 v[16:17], v[6:9], off
	global_store_dwordx4 v[16:17], v[0:3], off offset:16
	s_endpgm
	.section	.rodata,"a",@progbits
	.p2align	6, 0x0
	.amdhsa_kernel _Z6kernelI4downaLj256ELj32ELj100EEvPKT0_PS1_
		.amdhsa_group_segment_fixed_size 256
		.amdhsa_private_segment_fixed_size 0
		.amdhsa_kernarg_size 16
		.amdhsa_user_sgpr_count 6
		.amdhsa_user_sgpr_private_segment_buffer 1
		.amdhsa_user_sgpr_dispatch_ptr 0
		.amdhsa_user_sgpr_queue_ptr 0
		.amdhsa_user_sgpr_kernarg_segment_ptr 1
		.amdhsa_user_sgpr_dispatch_id 0
		.amdhsa_user_sgpr_flat_scratch_init 0
		.amdhsa_user_sgpr_kernarg_preload_length 0
		.amdhsa_user_sgpr_kernarg_preload_offset 0
		.amdhsa_user_sgpr_private_segment_size 0
		.amdhsa_uses_dynamic_stack 0
		.amdhsa_system_sgpr_private_segment_wavefront_offset 0
		.amdhsa_system_sgpr_workgroup_id_x 1
		.amdhsa_system_sgpr_workgroup_id_y 0
		.amdhsa_system_sgpr_workgroup_id_z 0
		.amdhsa_system_sgpr_workgroup_info 0
		.amdhsa_system_vgpr_workitem_id 0
		.amdhsa_next_free_vgpr 26
		.amdhsa_next_free_sgpr 7
		.amdhsa_accum_offset 28
		.amdhsa_reserve_vcc 1
		.amdhsa_reserve_flat_scratch 0
		.amdhsa_float_round_mode_32 0
		.amdhsa_float_round_mode_16_64 0
		.amdhsa_float_denorm_mode_32 3
		.amdhsa_float_denorm_mode_16_64 3
		.amdhsa_dx10_clamp 1
		.amdhsa_ieee_mode 1
		.amdhsa_fp16_overflow 0
		.amdhsa_tg_split 0
		.amdhsa_exception_fp_ieee_invalid_op 0
		.amdhsa_exception_fp_denorm_src 0
		.amdhsa_exception_fp_ieee_div_zero 0
		.amdhsa_exception_fp_ieee_overflow 0
		.amdhsa_exception_fp_ieee_underflow 0
		.amdhsa_exception_fp_ieee_inexact 0
		.amdhsa_exception_int_div_zero 0
	.end_amdhsa_kernel
	.section	.text._Z6kernelI4downaLj256ELj32ELj100EEvPKT0_PS1_,"axG",@progbits,_Z6kernelI4downaLj256ELj32ELj100EEvPKT0_PS1_,comdat
.Lfunc_end79:
	.size	_Z6kernelI4downaLj256ELj32ELj100EEvPKT0_PS1_, .Lfunc_end79-_Z6kernelI4downaLj256ELj32ELj100EEvPKT0_PS1_
                                        ; -- End function
	.section	.AMDGPU.csdata,"",@progbits
; Kernel info:
; codeLenInByte = 580
; NumSgprs: 11
; NumVgprs: 26
; NumAgprs: 0
; TotalNumVgprs: 26
; ScratchSize: 0
; MemoryBound: 0
; FloatMode: 240
; IeeeMode: 1
; LDSByteSize: 256 bytes/workgroup (compile time only)
; SGPRBlocks: 1
; VGPRBlocks: 3
; NumSGPRsForWavesPerEU: 11
; NumVGPRsForWavesPerEU: 26
; AccumOffset: 28
; Occupancy: 8
; WaveLimiterHint : 0
; COMPUTE_PGM_RSRC2:SCRATCH_EN: 0
; COMPUTE_PGM_RSRC2:USER_SGPR: 6
; COMPUTE_PGM_RSRC2:TRAP_HANDLER: 0
; COMPUTE_PGM_RSRC2:TGID_X_EN: 1
; COMPUTE_PGM_RSRC2:TGID_Y_EN: 0
; COMPUTE_PGM_RSRC2:TGID_Z_EN: 0
; COMPUTE_PGM_RSRC2:TIDIG_COMP_CNT: 0
; COMPUTE_PGM_RSRC3_GFX90A:ACCUM_OFFSET: 6
; COMPUTE_PGM_RSRC3_GFX90A:TG_SPLIT: 0
	.section	.text._Z6kernelI4downxLj256ELj1ELj100EEvPKT0_PS1_,"axG",@progbits,_Z6kernelI4downxLj256ELj1ELj100EEvPKT0_PS1_,comdat
	.protected	_Z6kernelI4downxLj256ELj1ELj100EEvPKT0_PS1_ ; -- Begin function _Z6kernelI4downxLj256ELj1ELj100EEvPKT0_PS1_
	.globl	_Z6kernelI4downxLj256ELj1ELj100EEvPKT0_PS1_
	.p2align	8
	.type	_Z6kernelI4downxLj256ELj1ELj100EEvPKT0_PS1_,@function
_Z6kernelI4downxLj256ELj1ELj100EEvPKT0_PS1_: ; @_Z6kernelI4downxLj256ELj1ELj100EEvPKT0_PS1_
; %bb.0:
	s_load_dwordx4 s[0:3], s[4:5], 0x0
	v_lshl_or_b32 v2, s6, 8, v0
	v_mov_b32_e32 v3, 0
	v_lshlrev_b64 v[2:3], 3, v[2:3]
	s_movk_i32 s4, 0x64
	s_waitcnt lgkmcnt(0)
	v_mov_b32_e32 v1, s1
	v_add_co_u32_e32 v4, vcc, s0, v2
	v_addc_co_u32_e32 v5, vcc, v1, v3, vcc
	global_load_dwordx2 v[4:5], v[4:5], off
	s_movk_i32 s0, 0xff
	v_lshlrev_b32_e32 v1, 3, v0
	v_cmp_gt_u32_e32 vcc, s0, v0
	s_branch .LBB80_2
.LBB80_1:                               ;   in Loop: Header=BB80_2 Depth=1
	s_or_b64 exec, exec, s[0:1]
	s_add_i32 s4, s4, -1
	s_cmp_lg_u32 s4, 0
	s_waitcnt lgkmcnt(0)
	s_barrier
	s_cbranch_scc0 .LBB80_4
.LBB80_2:                               ; =>This Inner Loop Header: Depth=1
	s_waitcnt vmcnt(0)
	ds_write_b64 v1, v[4:5]
	s_waitcnt lgkmcnt(0)
	s_barrier
	s_and_saveexec_b64 s[0:1], vcc
	s_cbranch_execz .LBB80_1
; %bb.3:                                ;   in Loop: Header=BB80_2 Depth=1
	ds_read_b64 v[4:5], v1 offset:8
	s_branch .LBB80_1
.LBB80_4:
	v_mov_b32_e32 v1, s3
	v_add_co_u32_e32 v0, vcc, s2, v2
	v_addc_co_u32_e32 v1, vcc, v1, v3, vcc
	global_store_dwordx2 v[0:1], v[4:5], off
	s_endpgm
	.section	.rodata,"a",@progbits
	.p2align	6, 0x0
	.amdhsa_kernel _Z6kernelI4downxLj256ELj1ELj100EEvPKT0_PS1_
		.amdhsa_group_segment_fixed_size 2048
		.amdhsa_private_segment_fixed_size 0
		.amdhsa_kernarg_size 16
		.amdhsa_user_sgpr_count 6
		.amdhsa_user_sgpr_private_segment_buffer 1
		.amdhsa_user_sgpr_dispatch_ptr 0
		.amdhsa_user_sgpr_queue_ptr 0
		.amdhsa_user_sgpr_kernarg_segment_ptr 1
		.amdhsa_user_sgpr_dispatch_id 0
		.amdhsa_user_sgpr_flat_scratch_init 0
		.amdhsa_user_sgpr_kernarg_preload_length 0
		.amdhsa_user_sgpr_kernarg_preload_offset 0
		.amdhsa_user_sgpr_private_segment_size 0
		.amdhsa_uses_dynamic_stack 0
		.amdhsa_system_sgpr_private_segment_wavefront_offset 0
		.amdhsa_system_sgpr_workgroup_id_x 1
		.amdhsa_system_sgpr_workgroup_id_y 0
		.amdhsa_system_sgpr_workgroup_id_z 0
		.amdhsa_system_sgpr_workgroup_info 0
		.amdhsa_system_vgpr_workitem_id 0
		.amdhsa_next_free_vgpr 6
		.amdhsa_next_free_sgpr 7
		.amdhsa_accum_offset 8
		.amdhsa_reserve_vcc 1
		.amdhsa_reserve_flat_scratch 0
		.amdhsa_float_round_mode_32 0
		.amdhsa_float_round_mode_16_64 0
		.amdhsa_float_denorm_mode_32 3
		.amdhsa_float_denorm_mode_16_64 3
		.amdhsa_dx10_clamp 1
		.amdhsa_ieee_mode 1
		.amdhsa_fp16_overflow 0
		.amdhsa_tg_split 0
		.amdhsa_exception_fp_ieee_invalid_op 0
		.amdhsa_exception_fp_denorm_src 0
		.amdhsa_exception_fp_ieee_div_zero 0
		.amdhsa_exception_fp_ieee_overflow 0
		.amdhsa_exception_fp_ieee_underflow 0
		.amdhsa_exception_fp_ieee_inexact 0
		.amdhsa_exception_int_div_zero 0
	.end_amdhsa_kernel
	.section	.text._Z6kernelI4downxLj256ELj1ELj100EEvPKT0_PS1_,"axG",@progbits,_Z6kernelI4downxLj256ELj1ELj100EEvPKT0_PS1_,comdat
.Lfunc_end80:
	.size	_Z6kernelI4downxLj256ELj1ELj100EEvPKT0_PS1_, .Lfunc_end80-_Z6kernelI4downxLj256ELj1ELj100EEvPKT0_PS1_
                                        ; -- End function
	.section	.AMDGPU.csdata,"",@progbits
; Kernel info:
; codeLenInByte = 160
; NumSgprs: 11
; NumVgprs: 6
; NumAgprs: 0
; TotalNumVgprs: 6
; ScratchSize: 0
; MemoryBound: 0
; FloatMode: 240
; IeeeMode: 1
; LDSByteSize: 2048 bytes/workgroup (compile time only)
; SGPRBlocks: 1
; VGPRBlocks: 0
; NumSGPRsForWavesPerEU: 11
; NumVGPRsForWavesPerEU: 6
; AccumOffset: 8
; Occupancy: 8
; WaveLimiterHint : 0
; COMPUTE_PGM_RSRC2:SCRATCH_EN: 0
; COMPUTE_PGM_RSRC2:USER_SGPR: 6
; COMPUTE_PGM_RSRC2:TRAP_HANDLER: 0
; COMPUTE_PGM_RSRC2:TGID_X_EN: 1
; COMPUTE_PGM_RSRC2:TGID_Y_EN: 0
; COMPUTE_PGM_RSRC2:TGID_Z_EN: 0
; COMPUTE_PGM_RSRC2:TIDIG_COMP_CNT: 0
; COMPUTE_PGM_RSRC3_GFX90A:ACCUM_OFFSET: 1
; COMPUTE_PGM_RSRC3_GFX90A:TG_SPLIT: 0
	.section	.text._Z6kernelI4downxLj256ELj3ELj100EEvPKT0_PS1_,"axG",@progbits,_Z6kernelI4downxLj256ELj3ELj100EEvPKT0_PS1_,comdat
	.protected	_Z6kernelI4downxLj256ELj3ELj100EEvPKT0_PS1_ ; -- Begin function _Z6kernelI4downxLj256ELj3ELj100EEvPKT0_PS1_
	.globl	_Z6kernelI4downxLj256ELj3ELj100EEvPKT0_PS1_
	.p2align	8
	.type	_Z6kernelI4downxLj256ELj3ELj100EEvPKT0_PS1_,@function
_Z6kernelI4downxLj256ELj3ELj100EEvPKT0_PS1_: ; @_Z6kernelI4downxLj256ELj3ELj100EEvPKT0_PS1_
; %bb.0:
	s_load_dwordx4 s[0:3], s[4:5], 0x0
	v_lshl_or_b32 v1, s6, 8, v0
	v_lshl_add_u32 v6, v1, 1, v1
	v_mov_b32_e32 v7, 0
	v_lshlrev_b64 v[2:3], 3, v[6:7]
	s_waitcnt lgkmcnt(0)
	v_mov_b32_e32 v1, s1
	v_add_co_u32_e32 v14, vcc, s0, v2
	v_add_u32_e32 v4, 1, v6
	v_mov_b32_e32 v5, v7
	v_addc_co_u32_e32 v15, vcc, v1, v3, vcc
	v_lshlrev_b64 v[4:5], 3, v[4:5]
	v_add_co_u32_e32 v16, vcc, s0, v4
	v_add_u32_e32 v6, 2, v6
	v_addc_co_u32_e32 v17, vcc, v1, v5, vcc
	v_lshlrev_b64 v[6:7], 3, v[6:7]
	v_add_co_u32_e32 v18, vcc, s0, v6
	v_addc_co_u32_e32 v19, vcc, v1, v7, vcc
	global_load_dwordx2 v[8:9], v[18:19], off
	global_load_dwordx2 v[12:13], v[14:15], off
	;; [unrolled: 1-line block ×3, first 2 shown]
	s_movk_i32 s0, 0xff
	v_lshlrev_b32_e32 v14, 3, v0
	v_cmp_gt_u32_e32 vcc, s0, v0
	s_movk_i32 s4, 0x64
	s_waitcnt vmcnt(2)
	v_pk_mov_b32 v[0:1], v[8:9], v[8:9] op_sel:[0,1]
.LBB81_1:                               ; =>This Inner Loop Header: Depth=1
	s_waitcnt vmcnt(1)
	ds_write_b64 v14, v[12:13]
	s_waitcnt lgkmcnt(0)
	s_barrier
	s_and_saveexec_b64 s[0:1], vcc
	s_cbranch_execz .LBB81_3
; %bb.2:                                ;   in Loop: Header=BB81_1 Depth=1
	ds_read_b64 v[0:1], v14 offset:8
.LBB81_3:                               ;   in Loop: Header=BB81_1 Depth=1
	s_or_b64 exec, exec, s[0:1]
	s_add_i32 s4, s4, -1
	s_cmp_lg_u32 s4, 0
	s_waitcnt lgkmcnt(0)
	s_barrier
	s_cbranch_scc0 .LBB81_5
; %bb.4:                                ;   in Loop: Header=BB81_1 Depth=1
	s_waitcnt vmcnt(0)
	v_pk_mov_b32 v[12:13], v[10:11], v[10:11] op_sel:[0,1]
	v_pk_mov_b32 v[10:11], v[8:9], v[8:9] op_sel:[0,1]
	;; [unrolled: 1-line block ×3, first 2 shown]
	s_branch .LBB81_1
.LBB81_5:
	v_mov_b32_e32 v12, s3
	v_add_co_u32_e32 v2, vcc, s2, v2
	v_addc_co_u32_e32 v3, vcc, v12, v3, vcc
	s_waitcnt vmcnt(0)
	global_store_dwordx2 v[2:3], v[10:11], off
	v_mov_b32_e32 v3, s3
	v_add_co_u32_e32 v2, vcc, s2, v4
	v_addc_co_u32_e32 v3, vcc, v3, v5, vcc
	global_store_dwordx2 v[2:3], v[8:9], off
	v_mov_b32_e32 v3, s3
	v_add_co_u32_e32 v2, vcc, s2, v6
	v_addc_co_u32_e32 v3, vcc, v3, v7, vcc
	global_store_dwordx2 v[2:3], v[0:1], off
	s_endpgm
	.section	.rodata,"a",@progbits
	.p2align	6, 0x0
	.amdhsa_kernel _Z6kernelI4downxLj256ELj3ELj100EEvPKT0_PS1_
		.amdhsa_group_segment_fixed_size 2048
		.amdhsa_private_segment_fixed_size 0
		.amdhsa_kernarg_size 16
		.amdhsa_user_sgpr_count 6
		.amdhsa_user_sgpr_private_segment_buffer 1
		.amdhsa_user_sgpr_dispatch_ptr 0
		.amdhsa_user_sgpr_queue_ptr 0
		.amdhsa_user_sgpr_kernarg_segment_ptr 1
		.amdhsa_user_sgpr_dispatch_id 0
		.amdhsa_user_sgpr_flat_scratch_init 0
		.amdhsa_user_sgpr_kernarg_preload_length 0
		.amdhsa_user_sgpr_kernarg_preload_offset 0
		.amdhsa_user_sgpr_private_segment_size 0
		.amdhsa_uses_dynamic_stack 0
		.amdhsa_system_sgpr_private_segment_wavefront_offset 0
		.amdhsa_system_sgpr_workgroup_id_x 1
		.amdhsa_system_sgpr_workgroup_id_y 0
		.amdhsa_system_sgpr_workgroup_id_z 0
		.amdhsa_system_sgpr_workgroup_info 0
		.amdhsa_system_vgpr_workitem_id 0
		.amdhsa_next_free_vgpr 20
		.amdhsa_next_free_sgpr 7
		.amdhsa_accum_offset 20
		.amdhsa_reserve_vcc 1
		.amdhsa_reserve_flat_scratch 0
		.amdhsa_float_round_mode_32 0
		.amdhsa_float_round_mode_16_64 0
		.amdhsa_float_denorm_mode_32 3
		.amdhsa_float_denorm_mode_16_64 3
		.amdhsa_dx10_clamp 1
		.amdhsa_ieee_mode 1
		.amdhsa_fp16_overflow 0
		.amdhsa_tg_split 0
		.amdhsa_exception_fp_ieee_invalid_op 0
		.amdhsa_exception_fp_denorm_src 0
		.amdhsa_exception_fp_ieee_div_zero 0
		.amdhsa_exception_fp_ieee_overflow 0
		.amdhsa_exception_fp_ieee_underflow 0
		.amdhsa_exception_fp_ieee_inexact 0
		.amdhsa_exception_int_div_zero 0
	.end_amdhsa_kernel
	.section	.text._Z6kernelI4downxLj256ELj3ELj100EEvPKT0_PS1_,"axG",@progbits,_Z6kernelI4downxLj256ELj3ELj100EEvPKT0_PS1_,comdat
.Lfunc_end81:
	.size	_Z6kernelI4downxLj256ELj3ELj100EEvPKT0_PS1_, .Lfunc_end81-_Z6kernelI4downxLj256ELj3ELj100EEvPKT0_PS1_
                                        ; -- End function
	.section	.AMDGPU.csdata,"",@progbits
; Kernel info:
; codeLenInByte = 308
; NumSgprs: 11
; NumVgprs: 20
; NumAgprs: 0
; TotalNumVgprs: 20
; ScratchSize: 0
; MemoryBound: 0
; FloatMode: 240
; IeeeMode: 1
; LDSByteSize: 2048 bytes/workgroup (compile time only)
; SGPRBlocks: 1
; VGPRBlocks: 2
; NumSGPRsForWavesPerEU: 11
; NumVGPRsForWavesPerEU: 20
; AccumOffset: 20
; Occupancy: 8
; WaveLimiterHint : 0
; COMPUTE_PGM_RSRC2:SCRATCH_EN: 0
; COMPUTE_PGM_RSRC2:USER_SGPR: 6
; COMPUTE_PGM_RSRC2:TRAP_HANDLER: 0
; COMPUTE_PGM_RSRC2:TGID_X_EN: 1
; COMPUTE_PGM_RSRC2:TGID_Y_EN: 0
; COMPUTE_PGM_RSRC2:TGID_Z_EN: 0
; COMPUTE_PGM_RSRC2:TIDIG_COMP_CNT: 0
; COMPUTE_PGM_RSRC3_GFX90A:ACCUM_OFFSET: 4
; COMPUTE_PGM_RSRC3_GFX90A:TG_SPLIT: 0
	.section	.text._Z6kernelI4downxLj256ELj4ELj100EEvPKT0_PS1_,"axG",@progbits,_Z6kernelI4downxLj256ELj4ELj100EEvPKT0_PS1_,comdat
	.protected	_Z6kernelI4downxLj256ELj4ELj100EEvPKT0_PS1_ ; -- Begin function _Z6kernelI4downxLj256ELj4ELj100EEvPKT0_PS1_
	.globl	_Z6kernelI4downxLj256ELj4ELj100EEvPKT0_PS1_
	.p2align	8
	.type	_Z6kernelI4downxLj256ELj4ELj100EEvPKT0_PS1_,@function
_Z6kernelI4downxLj256ELj4ELj100EEvPKT0_PS1_: ; @_Z6kernelI4downxLj256ELj4ELj100EEvPKT0_PS1_
; %bb.0:
	s_load_dwordx4 s[0:3], s[4:5], 0x0
	v_lshlrev_b32_e32 v1, 2, v0
	v_lshl_or_b32 v2, s6, 10, v1
	v_mov_b32_e32 v3, 0
	v_lshlrev_b64 v[12:13], 3, v[2:3]
	s_waitcnt lgkmcnt(0)
	v_mov_b32_e32 v1, s1
	v_add_co_u32_e32 v10, vcc, s0, v12
	v_addc_co_u32_e32 v11, vcc, v1, v13, vcc
	global_load_dwordx4 v[2:5], v[10:11], off offset:16
	global_load_dwordx4 v[6:9], v[10:11], off
	s_movk_i32 s0, 0xff
	v_lshlrev_b32_e32 v1, 3, v0
	v_cmp_gt_u32_e32 vcc, s0, v0
	s_movk_i32 s4, 0x64
.LBB82_1:                               ; =>This Inner Loop Header: Depth=1
	s_waitcnt vmcnt(1)
	v_pk_mov_b32 v[10:11], v[4:5], v[4:5] op_sel:[0,1]
	s_waitcnt vmcnt(0)
	ds_write_b64 v1, v[6:7]
	s_waitcnt lgkmcnt(0)
	s_barrier
	s_and_saveexec_b64 s[0:1], vcc
	s_cbranch_execz .LBB82_3
; %bb.2:                                ;   in Loop: Header=BB82_1 Depth=1
	ds_read_b64 v[10:11], v1 offset:8
.LBB82_3:                               ;   in Loop: Header=BB82_1 Depth=1
	s_or_b64 exec, exec, s[0:1]
	s_add_i32 s4, s4, -1
	s_cmp_lg_u32 s4, 0
	s_waitcnt lgkmcnt(0)
	s_barrier
	s_cbranch_scc0 .LBB82_5
; %bb.4:                                ;   in Loop: Header=BB82_1 Depth=1
	v_pk_mov_b32 v[6:7], v[8:9], v[8:9] op_sel:[0,1]
	v_pk_mov_b32 v[8:9], v[2:3], v[2:3] op_sel:[0,1]
	;; [unrolled: 1-line block ×4, first 2 shown]
	s_branch .LBB82_1
.LBB82_5:
	v_mov_b32_e32 v0, s3
	v_add_co_u32_e32 v6, vcc, s2, v12
	v_addc_co_u32_e32 v7, vcc, v0, v13, vcc
	v_mov_b32_e32 v0, v8
	v_mov_b32_e32 v1, v9
	;; [unrolled: 1-line block ×4, first 2 shown]
	global_store_dwordx4 v[6:7], v[0:3], off
	global_store_dwordx4 v[6:7], v[8:11], off offset:16
	s_endpgm
	.section	.rodata,"a",@progbits
	.p2align	6, 0x0
	.amdhsa_kernel _Z6kernelI4downxLj256ELj4ELj100EEvPKT0_PS1_
		.amdhsa_group_segment_fixed_size 2048
		.amdhsa_private_segment_fixed_size 0
		.amdhsa_kernarg_size 16
		.amdhsa_user_sgpr_count 6
		.amdhsa_user_sgpr_private_segment_buffer 1
		.amdhsa_user_sgpr_dispatch_ptr 0
		.amdhsa_user_sgpr_queue_ptr 0
		.amdhsa_user_sgpr_kernarg_segment_ptr 1
		.amdhsa_user_sgpr_dispatch_id 0
		.amdhsa_user_sgpr_flat_scratch_init 0
		.amdhsa_user_sgpr_kernarg_preload_length 0
		.amdhsa_user_sgpr_kernarg_preload_offset 0
		.amdhsa_user_sgpr_private_segment_size 0
		.amdhsa_uses_dynamic_stack 0
		.amdhsa_system_sgpr_private_segment_wavefront_offset 0
		.amdhsa_system_sgpr_workgroup_id_x 1
		.amdhsa_system_sgpr_workgroup_id_y 0
		.amdhsa_system_sgpr_workgroup_id_z 0
		.amdhsa_system_sgpr_workgroup_info 0
		.amdhsa_system_vgpr_workitem_id 0
		.amdhsa_next_free_vgpr 14
		.amdhsa_next_free_sgpr 7
		.amdhsa_accum_offset 16
		.amdhsa_reserve_vcc 1
		.amdhsa_reserve_flat_scratch 0
		.amdhsa_float_round_mode_32 0
		.amdhsa_float_round_mode_16_64 0
		.amdhsa_float_denorm_mode_32 3
		.amdhsa_float_denorm_mode_16_64 3
		.amdhsa_dx10_clamp 1
		.amdhsa_ieee_mode 1
		.amdhsa_fp16_overflow 0
		.amdhsa_tg_split 0
		.amdhsa_exception_fp_ieee_invalid_op 0
		.amdhsa_exception_fp_denorm_src 0
		.amdhsa_exception_fp_ieee_div_zero 0
		.amdhsa_exception_fp_ieee_overflow 0
		.amdhsa_exception_fp_ieee_underflow 0
		.amdhsa_exception_fp_ieee_inexact 0
		.amdhsa_exception_int_div_zero 0
	.end_amdhsa_kernel
	.section	.text._Z6kernelI4downxLj256ELj4ELj100EEvPKT0_PS1_,"axG",@progbits,_Z6kernelI4downxLj256ELj4ELj100EEvPKT0_PS1_,comdat
.Lfunc_end82:
	.size	_Z6kernelI4downxLj256ELj4ELj100EEvPKT0_PS1_, .Lfunc_end82-_Z6kernelI4downxLj256ELj4ELj100EEvPKT0_PS1_
                                        ; -- End function
	.section	.AMDGPU.csdata,"",@progbits
; Kernel info:
; codeLenInByte = 236
; NumSgprs: 11
; NumVgprs: 14
; NumAgprs: 0
; TotalNumVgprs: 14
; ScratchSize: 0
; MemoryBound: 0
; FloatMode: 240
; IeeeMode: 1
; LDSByteSize: 2048 bytes/workgroup (compile time only)
; SGPRBlocks: 1
; VGPRBlocks: 1
; NumSGPRsForWavesPerEU: 11
; NumVGPRsForWavesPerEU: 14
; AccumOffset: 16
; Occupancy: 8
; WaveLimiterHint : 0
; COMPUTE_PGM_RSRC2:SCRATCH_EN: 0
; COMPUTE_PGM_RSRC2:USER_SGPR: 6
; COMPUTE_PGM_RSRC2:TRAP_HANDLER: 0
; COMPUTE_PGM_RSRC2:TGID_X_EN: 1
; COMPUTE_PGM_RSRC2:TGID_Y_EN: 0
; COMPUTE_PGM_RSRC2:TGID_Z_EN: 0
; COMPUTE_PGM_RSRC2:TIDIG_COMP_CNT: 0
; COMPUTE_PGM_RSRC3_GFX90A:ACCUM_OFFSET: 3
; COMPUTE_PGM_RSRC3_GFX90A:TG_SPLIT: 0
	.section	.text._Z6kernelI4downxLj256ELj8ELj100EEvPKT0_PS1_,"axG",@progbits,_Z6kernelI4downxLj256ELj8ELj100EEvPKT0_PS1_,comdat
	.protected	_Z6kernelI4downxLj256ELj8ELj100EEvPKT0_PS1_ ; -- Begin function _Z6kernelI4downxLj256ELj8ELj100EEvPKT0_PS1_
	.globl	_Z6kernelI4downxLj256ELj8ELj100EEvPKT0_PS1_
	.p2align	8
	.type	_Z6kernelI4downxLj256ELj8ELj100EEvPKT0_PS1_,@function
_Z6kernelI4downxLj256ELj8ELj100EEvPKT0_PS1_: ; @_Z6kernelI4downxLj256ELj8ELj100EEvPKT0_PS1_
; %bb.0:
	s_load_dwordx4 s[0:3], s[4:5], 0x0
	v_lshlrev_b32_e32 v1, 3, v0
	v_lshl_or_b32 v2, s6, 11, v1
	v_mov_b32_e32 v3, 0
	v_lshlrev_b64 v[20:21], 3, v[2:3]
	s_waitcnt lgkmcnt(0)
	v_mov_b32_e32 v2, s1
	v_add_co_u32_e32 v18, vcc, s0, v20
	v_addc_co_u32_e32 v19, vcc, v2, v21, vcc
	global_load_dwordx4 v[2:5], v[18:19], off offset:48
	global_load_dwordx4 v[6:9], v[18:19], off offset:32
	;; [unrolled: 1-line block ×3, first 2 shown]
	global_load_dwordx4 v[14:17], v[18:19], off
	s_movk_i32 s0, 0xff
	v_cmp_gt_u32_e32 vcc, s0, v0
	s_movk_i32 s4, 0x64
.LBB83_1:                               ; =>This Inner Loop Header: Depth=1
	s_waitcnt vmcnt(0)
	v_pk_mov_b32 v[18:19], v[16:17], v[16:17] op_sel:[0,1]
	v_pk_mov_b32 v[16:17], v[10:11], v[10:11] op_sel:[0,1]
	;; [unrolled: 1-line block ×7, first 2 shown]
	ds_write_b64 v1, v[14:15]
	s_waitcnt lgkmcnt(0)
	s_barrier
	s_and_saveexec_b64 s[0:1], vcc
	s_cbranch_execz .LBB83_3
; %bb.2:                                ;   in Loop: Header=BB83_1 Depth=1
	ds_read_b64 v[4:5], v1 offset:8
.LBB83_3:                               ;   in Loop: Header=BB83_1 Depth=1
	s_or_b64 exec, exec, s[0:1]
	s_add_i32 s4, s4, -1
	s_cmp_lg_u32 s4, 0
	s_waitcnt lgkmcnt(0)
	s_barrier
	s_cbranch_scc0 .LBB83_5
; %bb.4:                                ;   in Loop: Header=BB83_1 Depth=1
	v_pk_mov_b32 v[14:15], v[18:19], v[18:19] op_sel:[0,1]
	s_branch .LBB83_1
.LBB83_5:
	v_mov_b32_e32 v1, s3
	v_add_co_u32_e32 v0, vcc, s2, v20
	v_addc_co_u32_e32 v1, vcc, v1, v21, vcc
	v_mov_b32_e32 v20, v16
	v_mov_b32_e32 v21, v17
	global_store_dwordx4 v[0:1], v[18:21], off
	global_store_dwordx4 v[0:1], v[10:13], off offset:16
	global_store_dwordx4 v[0:1], v[6:9], off offset:32
	;; [unrolled: 1-line block ×3, first 2 shown]
	s_endpgm
	.section	.rodata,"a",@progbits
	.p2align	6, 0x0
	.amdhsa_kernel _Z6kernelI4downxLj256ELj8ELj100EEvPKT0_PS1_
		.amdhsa_group_segment_fixed_size 2048
		.amdhsa_private_segment_fixed_size 0
		.amdhsa_kernarg_size 16
		.amdhsa_user_sgpr_count 6
		.amdhsa_user_sgpr_private_segment_buffer 1
		.amdhsa_user_sgpr_dispatch_ptr 0
		.amdhsa_user_sgpr_queue_ptr 0
		.amdhsa_user_sgpr_kernarg_segment_ptr 1
		.amdhsa_user_sgpr_dispatch_id 0
		.amdhsa_user_sgpr_flat_scratch_init 0
		.amdhsa_user_sgpr_kernarg_preload_length 0
		.amdhsa_user_sgpr_kernarg_preload_offset 0
		.amdhsa_user_sgpr_private_segment_size 0
		.amdhsa_uses_dynamic_stack 0
		.amdhsa_system_sgpr_private_segment_wavefront_offset 0
		.amdhsa_system_sgpr_workgroup_id_x 1
		.amdhsa_system_sgpr_workgroup_id_y 0
		.amdhsa_system_sgpr_workgroup_id_z 0
		.amdhsa_system_sgpr_workgroup_info 0
		.amdhsa_system_vgpr_workitem_id 0
		.amdhsa_next_free_vgpr 22
		.amdhsa_next_free_sgpr 7
		.amdhsa_accum_offset 24
		.amdhsa_reserve_vcc 1
		.amdhsa_reserve_flat_scratch 0
		.amdhsa_float_round_mode_32 0
		.amdhsa_float_round_mode_16_64 0
		.amdhsa_float_denorm_mode_32 3
		.amdhsa_float_denorm_mode_16_64 3
		.amdhsa_dx10_clamp 1
		.amdhsa_ieee_mode 1
		.amdhsa_fp16_overflow 0
		.amdhsa_tg_split 0
		.amdhsa_exception_fp_ieee_invalid_op 0
		.amdhsa_exception_fp_denorm_src 0
		.amdhsa_exception_fp_ieee_div_zero 0
		.amdhsa_exception_fp_ieee_overflow 0
		.amdhsa_exception_fp_ieee_underflow 0
		.amdhsa_exception_fp_ieee_inexact 0
		.amdhsa_exception_int_div_zero 0
	.end_amdhsa_kernel
	.section	.text._Z6kernelI4downxLj256ELj8ELj100EEvPKT0_PS1_,"axG",@progbits,_Z6kernelI4downxLj256ELj8ELj100EEvPKT0_PS1_,comdat
.Lfunc_end83:
	.size	_Z6kernelI4downxLj256ELj8ELj100EEvPKT0_PS1_, .Lfunc_end83-_Z6kernelI4downxLj256ELj8ELj100EEvPKT0_PS1_
                                        ; -- End function
	.section	.AMDGPU.csdata,"",@progbits
; Kernel info:
; codeLenInByte = 276
; NumSgprs: 11
; NumVgprs: 22
; NumAgprs: 0
; TotalNumVgprs: 22
; ScratchSize: 0
; MemoryBound: 1
; FloatMode: 240
; IeeeMode: 1
; LDSByteSize: 2048 bytes/workgroup (compile time only)
; SGPRBlocks: 1
; VGPRBlocks: 2
; NumSGPRsForWavesPerEU: 11
; NumVGPRsForWavesPerEU: 22
; AccumOffset: 24
; Occupancy: 8
; WaveLimiterHint : 0
; COMPUTE_PGM_RSRC2:SCRATCH_EN: 0
; COMPUTE_PGM_RSRC2:USER_SGPR: 6
; COMPUTE_PGM_RSRC2:TRAP_HANDLER: 0
; COMPUTE_PGM_RSRC2:TGID_X_EN: 1
; COMPUTE_PGM_RSRC2:TGID_Y_EN: 0
; COMPUTE_PGM_RSRC2:TGID_Z_EN: 0
; COMPUTE_PGM_RSRC2:TIDIG_COMP_CNT: 0
; COMPUTE_PGM_RSRC3_GFX90A:ACCUM_OFFSET: 5
; COMPUTE_PGM_RSRC3_GFX90A:TG_SPLIT: 0
	.section	.text._Z6kernelI4downxLj256ELj16ELj100EEvPKT0_PS1_,"axG",@progbits,_Z6kernelI4downxLj256ELj16ELj100EEvPKT0_PS1_,comdat
	.protected	_Z6kernelI4downxLj256ELj16ELj100EEvPKT0_PS1_ ; -- Begin function _Z6kernelI4downxLj256ELj16ELj100EEvPKT0_PS1_
	.globl	_Z6kernelI4downxLj256ELj16ELj100EEvPKT0_PS1_
	.p2align	8
	.type	_Z6kernelI4downxLj256ELj16ELj100EEvPKT0_PS1_,@function
_Z6kernelI4downxLj256ELj16ELj100EEvPKT0_PS1_: ; @_Z6kernelI4downxLj256ELj16ELj100EEvPKT0_PS1_
; %bb.0:
	s_load_dwordx4 s[0:3], s[4:5], 0x0
	v_lshlrev_b32_e32 v1, 4, v0
	v_lshl_or_b32 v2, s6, 12, v1
	v_mov_b32_e32 v3, 0
	v_lshlrev_b64 v[36:37], 3, v[2:3]
	s_waitcnt lgkmcnt(0)
	v_mov_b32_e32 v1, s1
	v_add_co_u32_e32 v34, vcc, s0, v36
	v_addc_co_u32_e32 v35, vcc, v1, v37, vcc
	global_load_dwordx4 v[2:5], v[34:35], off offset:48
	global_load_dwordx4 v[10:13], v[34:35], off offset:32
	;; [unrolled: 1-line block ×3, first 2 shown]
	global_load_dwordx4 v[26:29], v[34:35], off
	global_load_dwordx4 v[6:9], v[34:35], off offset:112
	global_load_dwordx4 v[14:17], v[34:35], off offset:96
	;; [unrolled: 1-line block ×4, first 2 shown]
	s_movk_i32 s0, 0xff
	v_lshlrev_b32_e32 v1, 3, v0
	v_cmp_gt_u32_e32 vcc, s0, v0
	s_movk_i32 s4, 0x64
.LBB84_1:                               ; =>This Inner Loop Header: Depth=1
	s_waitcnt vmcnt(4)
	v_pk_mov_b32 v[34:35], v[28:29], v[28:29] op_sel:[0,1]
	v_pk_mov_b32 v[28:29], v[18:19], v[18:19] op_sel:[0,1]
	;; [unrolled: 1-line block ×7, first 2 shown]
	s_waitcnt vmcnt(0)
	v_pk_mov_b32 v[4:5], v[30:31], v[30:31] op_sel:[0,1]
	v_pk_mov_b32 v[30:31], v[32:33], v[32:33] op_sel:[0,1]
	;; [unrolled: 1-line block ×8, first 2 shown]
	ds_write_b64 v1, v[26:27]
	s_waitcnt lgkmcnt(0)
	s_barrier
	s_and_saveexec_b64 s[0:1], vcc
	s_cbranch_execz .LBB84_3
; %bb.2:                                ;   in Loop: Header=BB84_1 Depth=1
	ds_read_b64 v[8:9], v1 offset:8
.LBB84_3:                               ;   in Loop: Header=BB84_1 Depth=1
	s_or_b64 exec, exec, s[0:1]
	s_add_i32 s4, s4, -1
	s_cmp_lg_u32 s4, 0
	s_waitcnt lgkmcnt(0)
	s_barrier
	s_cbranch_scc0 .LBB84_5
; %bb.4:                                ;   in Loop: Header=BB84_1 Depth=1
	v_pk_mov_b32 v[26:27], v[34:35], v[34:35] op_sel:[0,1]
	s_branch .LBB84_1
.LBB84_5:
	v_mov_b32_e32 v1, s3
	v_add_co_u32_e32 v0, vcc, s2, v36
	v_addc_co_u32_e32 v1, vcc, v1, v37, vcc
	v_mov_b32_e32 v36, v28
	v_mov_b32_e32 v37, v29
	global_store_dwordx4 v[0:1], v[34:37], off
	global_store_dwordx4 v[0:1], v[18:21], off offset:16
	global_store_dwordx4 v[0:1], v[10:13], off offset:32
	;; [unrolled: 1-line block ×7, first 2 shown]
	s_endpgm
	.section	.rodata,"a",@progbits
	.p2align	6, 0x0
	.amdhsa_kernel _Z6kernelI4downxLj256ELj16ELj100EEvPKT0_PS1_
		.amdhsa_group_segment_fixed_size 2048
		.amdhsa_private_segment_fixed_size 0
		.amdhsa_kernarg_size 16
		.amdhsa_user_sgpr_count 6
		.amdhsa_user_sgpr_private_segment_buffer 1
		.amdhsa_user_sgpr_dispatch_ptr 0
		.amdhsa_user_sgpr_queue_ptr 0
		.amdhsa_user_sgpr_kernarg_segment_ptr 1
		.amdhsa_user_sgpr_dispatch_id 0
		.amdhsa_user_sgpr_flat_scratch_init 0
		.amdhsa_user_sgpr_kernarg_preload_length 0
		.amdhsa_user_sgpr_kernarg_preload_offset 0
		.amdhsa_user_sgpr_private_segment_size 0
		.amdhsa_uses_dynamic_stack 0
		.amdhsa_system_sgpr_private_segment_wavefront_offset 0
		.amdhsa_system_sgpr_workgroup_id_x 1
		.amdhsa_system_sgpr_workgroup_id_y 0
		.amdhsa_system_sgpr_workgroup_id_z 0
		.amdhsa_system_sgpr_workgroup_info 0
		.amdhsa_system_vgpr_workitem_id 0
		.amdhsa_next_free_vgpr 38
		.amdhsa_next_free_sgpr 7
		.amdhsa_accum_offset 40
		.amdhsa_reserve_vcc 1
		.amdhsa_reserve_flat_scratch 0
		.amdhsa_float_round_mode_32 0
		.amdhsa_float_round_mode_16_64 0
		.amdhsa_float_denorm_mode_32 3
		.amdhsa_float_denorm_mode_16_64 3
		.amdhsa_dx10_clamp 1
		.amdhsa_ieee_mode 1
		.amdhsa_fp16_overflow 0
		.amdhsa_tg_split 0
		.amdhsa_exception_fp_ieee_invalid_op 0
		.amdhsa_exception_fp_denorm_src 0
		.amdhsa_exception_fp_ieee_div_zero 0
		.amdhsa_exception_fp_ieee_overflow 0
		.amdhsa_exception_fp_ieee_underflow 0
		.amdhsa_exception_fp_ieee_inexact 0
		.amdhsa_exception_int_div_zero 0
	.end_amdhsa_kernel
	.section	.text._Z6kernelI4downxLj256ELj16ELj100EEvPKT0_PS1_,"axG",@progbits,_Z6kernelI4downxLj256ELj16ELj100EEvPKT0_PS1_,comdat
.Lfunc_end84:
	.size	_Z6kernelI4downxLj256ELj16ELj100EEvPKT0_PS1_, .Lfunc_end84-_Z6kernelI4downxLj256ELj16ELj100EEvPKT0_PS1_
                                        ; -- End function
	.section	.AMDGPU.csdata,"",@progbits
; Kernel info:
; codeLenInByte = 412
; NumSgprs: 11
; NumVgprs: 38
; NumAgprs: 0
; TotalNumVgprs: 38
; ScratchSize: 0
; MemoryBound: 1
; FloatMode: 240
; IeeeMode: 1
; LDSByteSize: 2048 bytes/workgroup (compile time only)
; SGPRBlocks: 1
; VGPRBlocks: 4
; NumSGPRsForWavesPerEU: 11
; NumVGPRsForWavesPerEU: 38
; AccumOffset: 40
; Occupancy: 8
; WaveLimiterHint : 0
; COMPUTE_PGM_RSRC2:SCRATCH_EN: 0
; COMPUTE_PGM_RSRC2:USER_SGPR: 6
; COMPUTE_PGM_RSRC2:TRAP_HANDLER: 0
; COMPUTE_PGM_RSRC2:TGID_X_EN: 1
; COMPUTE_PGM_RSRC2:TGID_Y_EN: 0
; COMPUTE_PGM_RSRC2:TGID_Z_EN: 0
; COMPUTE_PGM_RSRC2:TIDIG_COMP_CNT: 0
; COMPUTE_PGM_RSRC3_GFX90A:ACCUM_OFFSET: 9
; COMPUTE_PGM_RSRC3_GFX90A:TG_SPLIT: 0
	.section	.text._Z6kernelI4downxLj256ELj32ELj100EEvPKT0_PS1_,"axG",@progbits,_Z6kernelI4downxLj256ELj32ELj100EEvPKT0_PS1_,comdat
	.protected	_Z6kernelI4downxLj256ELj32ELj100EEvPKT0_PS1_ ; -- Begin function _Z6kernelI4downxLj256ELj32ELj100EEvPKT0_PS1_
	.globl	_Z6kernelI4downxLj256ELj32ELj100EEvPKT0_PS1_
	.p2align	8
	.type	_Z6kernelI4downxLj256ELj32ELj100EEvPKT0_PS1_,@function
_Z6kernelI4downxLj256ELj32ELj100EEvPKT0_PS1_: ; @_Z6kernelI4downxLj256ELj32ELj100EEvPKT0_PS1_
; %bb.0:
	s_load_dwordx4 s[0:3], s[4:5], 0x0
	v_lshlrev_b32_e32 v1, 5, v0
	v_lshl_or_b32 v2, s6, 13, v1
	v_mov_b32_e32 v3, 0
	v_lshlrev_b64 v[68:69], 3, v[2:3]
	s_waitcnt lgkmcnt(0)
	v_mov_b32_e32 v1, s1
	v_add_co_u32_e32 v62, vcc, s0, v68
	v_addc_co_u32_e32 v63, vcc, v1, v69, vcc
	global_load_dwordx4 v[2:5], v[62:63], off offset:48
	global_load_dwordx4 v[10:13], v[62:63], off offset:32
	;; [unrolled: 1-line block ×3, first 2 shown]
	global_load_dwordx4 v[42:45], v[62:63], off
	global_load_dwordx4 v[6:9], v[62:63], off offset:112
	global_load_dwordx4 v[18:21], v[62:63], off offset:96
	;; [unrolled: 1-line block ×11, first 2 shown]
	s_nop 0
	global_load_dwordx4 v[62:65], v[62:63], off offset:192
	s_movk_i32 s0, 0xff
	v_lshlrev_b32_e32 v1, 3, v0
	v_cmp_gt_u32_e32 vcc, s0, v0
	s_movk_i32 s4, 0x64
.LBB85_1:                               ; =>This Inner Loop Header: Depth=1
	s_waitcnt vmcnt(12)
	v_pk_mov_b32 v[66:67], v[44:45], v[44:45] op_sel:[0,1]
	v_pk_mov_b32 v[44:45], v[26:27], v[26:27] op_sel:[0,1]
	v_pk_mov_b32 v[26:27], v[28:29], v[28:29] op_sel:[0,1]
	v_pk_mov_b32 v[28:29], v[10:11], v[10:11] op_sel:[0,1]
	v_pk_mov_b32 v[10:11], v[12:13], v[12:13] op_sel:[0,1]
	v_pk_mov_b32 v[12:13], v[2:3], v[2:3] op_sel:[0,1]
	v_pk_mov_b32 v[2:3], v[4:5], v[4:5] op_sel:[0,1]
	s_waitcnt vmcnt(8)
	v_pk_mov_b32 v[4:5], v[50:51], v[50:51] op_sel:[0,1]
	v_pk_mov_b32 v[50:51], v[52:53], v[52:53] op_sel:[0,1]
	v_pk_mov_b32 v[52:53], v[34:35], v[34:35] op_sel:[0,1]
	v_pk_mov_b32 v[34:35], v[36:37], v[36:37] op_sel:[0,1]
	v_pk_mov_b32 v[36:37], v[18:19], v[18:19] op_sel:[0,1]
	v_pk_mov_b32 v[18:19], v[20:21], v[20:21] op_sel:[0,1]
	v_pk_mov_b32 v[20:21], v[6:7], v[6:7] op_sel:[0,1]
	v_pk_mov_b32 v[6:7], v[8:9], v[8:9] op_sel:[0,1]
	s_waitcnt vmcnt(4)
	v_pk_mov_b32 v[8:9], v[58:59], v[58:59] op_sel:[0,1]
	;; [unrolled: 9-line block ×3, first 2 shown]
	v_pk_mov_b32 v[62:63], v[64:65], v[64:65] op_sel:[0,1]
	v_pk_mov_b32 v[64:65], v[54:55], v[54:55] op_sel:[0,1]
	;; [unrolled: 1-line block ×7, first 2 shown]
	ds_write_b64 v1, v[42:43]
	s_waitcnt lgkmcnt(0)
	s_barrier
	s_and_saveexec_b64 s[0:1], vcc
	s_cbranch_execz .LBB85_3
; %bb.2:                                ;   in Loop: Header=BB85_1 Depth=1
	ds_read_b64 v[24:25], v1 offset:8
.LBB85_3:                               ;   in Loop: Header=BB85_1 Depth=1
	s_or_b64 exec, exec, s[0:1]
	s_add_i32 s4, s4, -1
	s_cmp_lg_u32 s4, 0
	s_waitcnt lgkmcnt(0)
	s_barrier
	s_cbranch_scc0 .LBB85_5
; %bb.4:                                ;   in Loop: Header=BB85_1 Depth=1
	v_pk_mov_b32 v[42:43], v[66:67], v[66:67] op_sel:[0,1]
	s_branch .LBB85_1
.LBB85_5:
	v_mov_b32_e32 v1, s3
	v_add_co_u32_e32 v0, vcc, s2, v68
	v_addc_co_u32_e32 v1, vcc, v1, v69, vcc
	v_mov_b32_e32 v68, v44
	v_mov_b32_e32 v69, v45
	global_store_dwordx4 v[0:1], v[66:69], off
	global_store_dwordx4 v[0:1], v[26:29], off offset:16
	global_store_dwordx4 v[0:1], v[10:13], off offset:32
	;; [unrolled: 1-line block ×15, first 2 shown]
	s_endpgm
	.section	.rodata,"a",@progbits
	.p2align	6, 0x0
	.amdhsa_kernel _Z6kernelI4downxLj256ELj32ELj100EEvPKT0_PS1_
		.amdhsa_group_segment_fixed_size 2048
		.amdhsa_private_segment_fixed_size 0
		.amdhsa_kernarg_size 16
		.amdhsa_user_sgpr_count 6
		.amdhsa_user_sgpr_private_segment_buffer 1
		.amdhsa_user_sgpr_dispatch_ptr 0
		.amdhsa_user_sgpr_queue_ptr 0
		.amdhsa_user_sgpr_kernarg_segment_ptr 1
		.amdhsa_user_sgpr_dispatch_id 0
		.amdhsa_user_sgpr_flat_scratch_init 0
		.amdhsa_user_sgpr_kernarg_preload_length 0
		.amdhsa_user_sgpr_kernarg_preload_offset 0
		.amdhsa_user_sgpr_private_segment_size 0
		.amdhsa_uses_dynamic_stack 0
		.amdhsa_system_sgpr_private_segment_wavefront_offset 0
		.amdhsa_system_sgpr_workgroup_id_x 1
		.amdhsa_system_sgpr_workgroup_id_y 0
		.amdhsa_system_sgpr_workgroup_id_z 0
		.amdhsa_system_sgpr_workgroup_info 0
		.amdhsa_system_vgpr_workitem_id 0
		.amdhsa_next_free_vgpr 70
		.amdhsa_next_free_sgpr 7
		.amdhsa_accum_offset 72
		.amdhsa_reserve_vcc 1
		.amdhsa_reserve_flat_scratch 0
		.amdhsa_float_round_mode_32 0
		.amdhsa_float_round_mode_16_64 0
		.amdhsa_float_denorm_mode_32 3
		.amdhsa_float_denorm_mode_16_64 3
		.amdhsa_dx10_clamp 1
		.amdhsa_ieee_mode 1
		.amdhsa_fp16_overflow 0
		.amdhsa_tg_split 0
		.amdhsa_exception_fp_ieee_invalid_op 0
		.amdhsa_exception_fp_denorm_src 0
		.amdhsa_exception_fp_ieee_div_zero 0
		.amdhsa_exception_fp_ieee_overflow 0
		.amdhsa_exception_fp_ieee_underflow 0
		.amdhsa_exception_fp_ieee_inexact 0
		.amdhsa_exception_int_div_zero 0
	.end_amdhsa_kernel
	.section	.text._Z6kernelI4downxLj256ELj32ELj100EEvPKT0_PS1_,"axG",@progbits,_Z6kernelI4downxLj256ELj32ELj100EEvPKT0_PS1_,comdat
.Lfunc_end85:
	.size	_Z6kernelI4downxLj256ELj32ELj100EEvPKT0_PS1_, .Lfunc_end85-_Z6kernelI4downxLj256ELj32ELj100EEvPKT0_PS1_
                                        ; -- End function
	.section	.AMDGPU.csdata,"",@progbits
; Kernel info:
; codeLenInByte = 680
; NumSgprs: 11
; NumVgprs: 70
; NumAgprs: 0
; TotalNumVgprs: 70
; ScratchSize: 0
; MemoryBound: 1
; FloatMode: 240
; IeeeMode: 1
; LDSByteSize: 2048 bytes/workgroup (compile time only)
; SGPRBlocks: 1
; VGPRBlocks: 8
; NumSGPRsForWavesPerEU: 11
; NumVGPRsForWavesPerEU: 70
; AccumOffset: 72
; Occupancy: 7
; WaveLimiterHint : 0
; COMPUTE_PGM_RSRC2:SCRATCH_EN: 0
; COMPUTE_PGM_RSRC2:USER_SGPR: 6
; COMPUTE_PGM_RSRC2:TRAP_HANDLER: 0
; COMPUTE_PGM_RSRC2:TGID_X_EN: 1
; COMPUTE_PGM_RSRC2:TGID_Y_EN: 0
; COMPUTE_PGM_RSRC2:TGID_Z_EN: 0
; COMPUTE_PGM_RSRC2:TIDIG_COMP_CNT: 0
; COMPUTE_PGM_RSRC3_GFX90A:ACCUM_OFFSET: 17
; COMPUTE_PGM_RSRC3_GFX90A:TG_SPLIT: 0
	.section	.text._Z6kernelI4downN15benchmark_utils11custom_typeIffEELj256ELj1ELj100EEvPKT0_PS4_,"axG",@progbits,_Z6kernelI4downN15benchmark_utils11custom_typeIffEELj256ELj1ELj100EEvPKT0_PS4_,comdat
	.protected	_Z6kernelI4downN15benchmark_utils11custom_typeIffEELj256ELj1ELj100EEvPKT0_PS4_ ; -- Begin function _Z6kernelI4downN15benchmark_utils11custom_typeIffEELj256ELj1ELj100EEvPKT0_PS4_
	.globl	_Z6kernelI4downN15benchmark_utils11custom_typeIffEELj256ELj1ELj100EEvPKT0_PS4_
	.p2align	8
	.type	_Z6kernelI4downN15benchmark_utils11custom_typeIffEELj256ELj1ELj100EEvPKT0_PS4_,@function
_Z6kernelI4downN15benchmark_utils11custom_typeIffEELj256ELj1ELj100EEvPKT0_PS4_: ; @_Z6kernelI4downN15benchmark_utils11custom_typeIffEELj256ELj1ELj100EEvPKT0_PS4_
; %bb.0:
	s_load_dwordx4 s[0:3], s[4:5], 0x0
	v_lshl_or_b32 v2, s6, 8, v0
	v_mov_b32_e32 v3, 0
	v_lshlrev_b64 v[2:3], 3, v[2:3]
	s_movk_i32 s4, 0x64
	s_waitcnt lgkmcnt(0)
	v_mov_b32_e32 v1, s1
	v_add_co_u32_e32 v4, vcc, s0, v2
	v_addc_co_u32_e32 v5, vcc, v1, v3, vcc
	global_load_dwordx2 v[4:5], v[4:5], off
	s_movk_i32 s0, 0xff
	v_lshlrev_b32_e32 v1, 3, v0
	v_cmp_gt_u32_e32 vcc, s0, v0
	s_branch .LBB86_2
.LBB86_1:                               ;   in Loop: Header=BB86_2 Depth=1
	s_or_b64 exec, exec, s[0:1]
	s_add_i32 s4, s4, -1
	s_cmp_lg_u32 s4, 0
	s_waitcnt lgkmcnt(0)
	s_barrier
	s_cbranch_scc0 .LBB86_4
.LBB86_2:                               ; =>This Inner Loop Header: Depth=1
	s_waitcnt vmcnt(0)
	ds_write2_b32 v1, v4, v5 offset1:1
	s_waitcnt lgkmcnt(0)
	s_barrier
	s_and_saveexec_b64 s[0:1], vcc
	s_cbranch_execz .LBB86_1
; %bb.3:                                ;   in Loop: Header=BB86_2 Depth=1
	ds_read2_b32 v[4:5], v1 offset0:2 offset1:3
	s_branch .LBB86_1
.LBB86_4:
	v_mov_b32_e32 v1, s3
	v_add_co_u32_e32 v0, vcc, s2, v2
	v_addc_co_u32_e32 v1, vcc, v1, v3, vcc
	global_store_dwordx2 v[0:1], v[4:5], off
	s_endpgm
	.section	.rodata,"a",@progbits
	.p2align	6, 0x0
	.amdhsa_kernel _Z6kernelI4downN15benchmark_utils11custom_typeIffEELj256ELj1ELj100EEvPKT0_PS4_
		.amdhsa_group_segment_fixed_size 2048
		.amdhsa_private_segment_fixed_size 0
		.amdhsa_kernarg_size 16
		.amdhsa_user_sgpr_count 6
		.amdhsa_user_sgpr_private_segment_buffer 1
		.amdhsa_user_sgpr_dispatch_ptr 0
		.amdhsa_user_sgpr_queue_ptr 0
		.amdhsa_user_sgpr_kernarg_segment_ptr 1
		.amdhsa_user_sgpr_dispatch_id 0
		.amdhsa_user_sgpr_flat_scratch_init 0
		.amdhsa_user_sgpr_kernarg_preload_length 0
		.amdhsa_user_sgpr_kernarg_preload_offset 0
		.amdhsa_user_sgpr_private_segment_size 0
		.amdhsa_uses_dynamic_stack 0
		.amdhsa_system_sgpr_private_segment_wavefront_offset 0
		.amdhsa_system_sgpr_workgroup_id_x 1
		.amdhsa_system_sgpr_workgroup_id_y 0
		.amdhsa_system_sgpr_workgroup_id_z 0
		.amdhsa_system_sgpr_workgroup_info 0
		.amdhsa_system_vgpr_workitem_id 0
		.amdhsa_next_free_vgpr 6
		.amdhsa_next_free_sgpr 7
		.amdhsa_accum_offset 8
		.amdhsa_reserve_vcc 1
		.amdhsa_reserve_flat_scratch 0
		.amdhsa_float_round_mode_32 0
		.amdhsa_float_round_mode_16_64 0
		.amdhsa_float_denorm_mode_32 3
		.amdhsa_float_denorm_mode_16_64 3
		.amdhsa_dx10_clamp 1
		.amdhsa_ieee_mode 1
		.amdhsa_fp16_overflow 0
		.amdhsa_tg_split 0
		.amdhsa_exception_fp_ieee_invalid_op 0
		.amdhsa_exception_fp_denorm_src 0
		.amdhsa_exception_fp_ieee_div_zero 0
		.amdhsa_exception_fp_ieee_overflow 0
		.amdhsa_exception_fp_ieee_underflow 0
		.amdhsa_exception_fp_ieee_inexact 0
		.amdhsa_exception_int_div_zero 0
	.end_amdhsa_kernel
	.section	.text._Z6kernelI4downN15benchmark_utils11custom_typeIffEELj256ELj1ELj100EEvPKT0_PS4_,"axG",@progbits,_Z6kernelI4downN15benchmark_utils11custom_typeIffEELj256ELj1ELj100EEvPKT0_PS4_,comdat
.Lfunc_end86:
	.size	_Z6kernelI4downN15benchmark_utils11custom_typeIffEELj256ELj1ELj100EEvPKT0_PS4_, .Lfunc_end86-_Z6kernelI4downN15benchmark_utils11custom_typeIffEELj256ELj1ELj100EEvPKT0_PS4_
                                        ; -- End function
	.section	.AMDGPU.csdata,"",@progbits
; Kernel info:
; codeLenInByte = 160
; NumSgprs: 11
; NumVgprs: 6
; NumAgprs: 0
; TotalNumVgprs: 6
; ScratchSize: 0
; MemoryBound: 0
; FloatMode: 240
; IeeeMode: 1
; LDSByteSize: 2048 bytes/workgroup (compile time only)
; SGPRBlocks: 1
; VGPRBlocks: 0
; NumSGPRsForWavesPerEU: 11
; NumVGPRsForWavesPerEU: 6
; AccumOffset: 8
; Occupancy: 8
; WaveLimiterHint : 0
; COMPUTE_PGM_RSRC2:SCRATCH_EN: 0
; COMPUTE_PGM_RSRC2:USER_SGPR: 6
; COMPUTE_PGM_RSRC2:TRAP_HANDLER: 0
; COMPUTE_PGM_RSRC2:TGID_X_EN: 1
; COMPUTE_PGM_RSRC2:TGID_Y_EN: 0
; COMPUTE_PGM_RSRC2:TGID_Z_EN: 0
; COMPUTE_PGM_RSRC2:TIDIG_COMP_CNT: 0
; COMPUTE_PGM_RSRC3_GFX90A:ACCUM_OFFSET: 1
; COMPUTE_PGM_RSRC3_GFX90A:TG_SPLIT: 0
	.section	.text._Z6kernelI4downN15benchmark_utils11custom_typeIffEELj256ELj3ELj100EEvPKT0_PS4_,"axG",@progbits,_Z6kernelI4downN15benchmark_utils11custom_typeIffEELj256ELj3ELj100EEvPKT0_PS4_,comdat
	.protected	_Z6kernelI4downN15benchmark_utils11custom_typeIffEELj256ELj3ELj100EEvPKT0_PS4_ ; -- Begin function _Z6kernelI4downN15benchmark_utils11custom_typeIffEELj256ELj3ELj100EEvPKT0_PS4_
	.globl	_Z6kernelI4downN15benchmark_utils11custom_typeIffEELj256ELj3ELj100EEvPKT0_PS4_
	.p2align	8
	.type	_Z6kernelI4downN15benchmark_utils11custom_typeIffEELj256ELj3ELj100EEvPKT0_PS4_,@function
_Z6kernelI4downN15benchmark_utils11custom_typeIffEELj256ELj3ELj100EEvPKT0_PS4_: ; @_Z6kernelI4downN15benchmark_utils11custom_typeIffEELj256ELj3ELj100EEvPKT0_PS4_
; %bb.0:
	s_load_dwordx4 s[0:3], s[4:5], 0x0
	v_lshl_or_b32 v1, s6, 8, v0
	v_lshl_add_u32 v6, v1, 1, v1
	v_mov_b32_e32 v7, 0
	v_lshlrev_b64 v[2:3], 3, v[6:7]
	s_waitcnt lgkmcnt(0)
	v_mov_b32_e32 v1, s1
	v_add_co_u32_e32 v14, vcc, s0, v2
	v_add_u32_e32 v4, 1, v6
	v_mov_b32_e32 v5, v7
	v_addc_co_u32_e32 v15, vcc, v1, v3, vcc
	v_lshlrev_b64 v[4:5], 3, v[4:5]
	v_add_co_u32_e32 v16, vcc, s0, v4
	v_add_u32_e32 v6, 2, v6
	v_addc_co_u32_e32 v17, vcc, v1, v5, vcc
	v_lshlrev_b64 v[6:7], 3, v[6:7]
	v_add_co_u32_e32 v18, vcc, s0, v6
	v_addc_co_u32_e32 v19, vcc, v1, v7, vcc
	global_load_dwordx2 v[12:13], v[14:15], off
	global_load_dwordx2 v[10:11], v[16:17], off
	;; [unrolled: 1-line block ×3, first 2 shown]
	s_movk_i32 s0, 0xff
	v_lshlrev_b32_e32 v14, 3, v0
	v_cmp_gt_u32_e32 vcc, s0, v0
	s_movk_i32 s4, 0x64
.LBB87_1:                               ; =>This Inner Loop Header: Depth=1
	s_waitcnt vmcnt(1)
	v_pk_mov_b32 v[0:1], v[10:11], v[10:11] op_sel:[0,1]
	s_waitcnt vmcnt(0)
	v_pk_mov_b32 v[10:11], v[8:9], v[8:9] op_sel:[0,1]
	ds_write2_b32 v14, v12, v13 offset1:1
	s_waitcnt lgkmcnt(0)
	s_barrier
	s_and_saveexec_b64 s[0:1], vcc
	s_cbranch_execz .LBB87_3
; %bb.2:                                ;   in Loop: Header=BB87_1 Depth=1
	ds_read2_b32 v[8:9], v14 offset0:2 offset1:3
.LBB87_3:                               ;   in Loop: Header=BB87_1 Depth=1
	s_or_b64 exec, exec, s[0:1]
	s_add_i32 s4, s4, -1
	s_cmp_lg_u32 s4, 0
	s_waitcnt lgkmcnt(0)
	s_barrier
	s_cbranch_scc0 .LBB87_5
; %bb.4:                                ;   in Loop: Header=BB87_1 Depth=1
	v_pk_mov_b32 v[12:13], v[0:1], v[0:1] op_sel:[0,1]
	s_branch .LBB87_1
.LBB87_5:
	v_mov_b32_e32 v12, s3
	v_add_co_u32_e32 v2, vcc, s2, v2
	v_addc_co_u32_e32 v3, vcc, v12, v3, vcc
	global_store_dwordx2 v[2:3], v[0:1], off
	v_mov_b32_e32 v1, s3
	v_add_co_u32_e32 v0, vcc, s2, v4
	v_addc_co_u32_e32 v1, vcc, v1, v5, vcc
	global_store_dwordx2 v[0:1], v[10:11], off
	;; [unrolled: 4-line block ×3, first 2 shown]
	s_endpgm
	.section	.rodata,"a",@progbits
	.p2align	6, 0x0
	.amdhsa_kernel _Z6kernelI4downN15benchmark_utils11custom_typeIffEELj256ELj3ELj100EEvPKT0_PS4_
		.amdhsa_group_segment_fixed_size 2048
		.amdhsa_private_segment_fixed_size 0
		.amdhsa_kernarg_size 16
		.amdhsa_user_sgpr_count 6
		.amdhsa_user_sgpr_private_segment_buffer 1
		.amdhsa_user_sgpr_dispatch_ptr 0
		.amdhsa_user_sgpr_queue_ptr 0
		.amdhsa_user_sgpr_kernarg_segment_ptr 1
		.amdhsa_user_sgpr_dispatch_id 0
		.amdhsa_user_sgpr_flat_scratch_init 0
		.amdhsa_user_sgpr_kernarg_preload_length 0
		.amdhsa_user_sgpr_kernarg_preload_offset 0
		.amdhsa_user_sgpr_private_segment_size 0
		.amdhsa_uses_dynamic_stack 0
		.amdhsa_system_sgpr_private_segment_wavefront_offset 0
		.amdhsa_system_sgpr_workgroup_id_x 1
		.amdhsa_system_sgpr_workgroup_id_y 0
		.amdhsa_system_sgpr_workgroup_id_z 0
		.amdhsa_system_sgpr_workgroup_info 0
		.amdhsa_system_vgpr_workitem_id 0
		.amdhsa_next_free_vgpr 20
		.amdhsa_next_free_sgpr 7
		.amdhsa_accum_offset 20
		.amdhsa_reserve_vcc 1
		.amdhsa_reserve_flat_scratch 0
		.amdhsa_float_round_mode_32 0
		.amdhsa_float_round_mode_16_64 0
		.amdhsa_float_denorm_mode_32 3
		.amdhsa_float_denorm_mode_16_64 3
		.amdhsa_dx10_clamp 1
		.amdhsa_ieee_mode 1
		.amdhsa_fp16_overflow 0
		.amdhsa_tg_split 0
		.amdhsa_exception_fp_ieee_invalid_op 0
		.amdhsa_exception_fp_denorm_src 0
		.amdhsa_exception_fp_ieee_div_zero 0
		.amdhsa_exception_fp_ieee_overflow 0
		.amdhsa_exception_fp_ieee_underflow 0
		.amdhsa_exception_fp_ieee_inexact 0
		.amdhsa_exception_int_div_zero 0
	.end_amdhsa_kernel
	.section	.text._Z6kernelI4downN15benchmark_utils11custom_typeIffEELj256ELj3ELj100EEvPKT0_PS4_,"axG",@progbits,_Z6kernelI4downN15benchmark_utils11custom_typeIffEELj256ELj3ELj100EEvPKT0_PS4_,comdat
.Lfunc_end87:
	.size	_Z6kernelI4downN15benchmark_utils11custom_typeIffEELj256ELj3ELj100EEvPKT0_PS4_, .Lfunc_end87-_Z6kernelI4downN15benchmark_utils11custom_typeIffEELj256ELj3ELj100EEvPKT0_PS4_
                                        ; -- End function
	.section	.AMDGPU.csdata,"",@progbits
; Kernel info:
; codeLenInByte = 292
; NumSgprs: 11
; NumVgprs: 20
; NumAgprs: 0
; TotalNumVgprs: 20
; ScratchSize: 0
; MemoryBound: 0
; FloatMode: 240
; IeeeMode: 1
; LDSByteSize: 2048 bytes/workgroup (compile time only)
; SGPRBlocks: 1
; VGPRBlocks: 2
; NumSGPRsForWavesPerEU: 11
; NumVGPRsForWavesPerEU: 20
; AccumOffset: 20
; Occupancy: 8
; WaveLimiterHint : 0
; COMPUTE_PGM_RSRC2:SCRATCH_EN: 0
; COMPUTE_PGM_RSRC2:USER_SGPR: 6
; COMPUTE_PGM_RSRC2:TRAP_HANDLER: 0
; COMPUTE_PGM_RSRC2:TGID_X_EN: 1
; COMPUTE_PGM_RSRC2:TGID_Y_EN: 0
; COMPUTE_PGM_RSRC2:TGID_Z_EN: 0
; COMPUTE_PGM_RSRC2:TIDIG_COMP_CNT: 0
; COMPUTE_PGM_RSRC3_GFX90A:ACCUM_OFFSET: 4
; COMPUTE_PGM_RSRC3_GFX90A:TG_SPLIT: 0
	.section	.text._Z6kernelI4downN15benchmark_utils11custom_typeIffEELj256ELj4ELj100EEvPKT0_PS4_,"axG",@progbits,_Z6kernelI4downN15benchmark_utils11custom_typeIffEELj256ELj4ELj100EEvPKT0_PS4_,comdat
	.protected	_Z6kernelI4downN15benchmark_utils11custom_typeIffEELj256ELj4ELj100EEvPKT0_PS4_ ; -- Begin function _Z6kernelI4downN15benchmark_utils11custom_typeIffEELj256ELj4ELj100EEvPKT0_PS4_
	.globl	_Z6kernelI4downN15benchmark_utils11custom_typeIffEELj256ELj4ELj100EEvPKT0_PS4_
	.p2align	8
	.type	_Z6kernelI4downN15benchmark_utils11custom_typeIffEELj256ELj4ELj100EEvPKT0_PS4_,@function
_Z6kernelI4downN15benchmark_utils11custom_typeIffEELj256ELj4ELj100EEvPKT0_PS4_: ; @_Z6kernelI4downN15benchmark_utils11custom_typeIffEELj256ELj4ELj100EEvPKT0_PS4_
; %bb.0:
	s_load_dwordx4 s[0:3], s[4:5], 0x0
	v_lshlrev_b32_e32 v1, 2, v0
	v_lshl_or_b32 v2, s6, 10, v1
	v_mov_b32_e32 v3, 0
	v_lshlrev_b64 v[10:11], 3, v[2:3]
	s_waitcnt lgkmcnt(0)
	v_mov_b32_e32 v1, s1
	v_add_co_u32_e32 v12, vcc, s0, v10
	v_addc_co_u32_e32 v13, vcc, v1, v11, vcc
	global_load_dwordx4 v[2:5], v[12:13], off offset:16
	global_load_dwordx4 v[6:9], v[12:13], off
	s_movk_i32 s0, 0xff
	v_lshlrev_b32_e32 v12, 3, v0
	v_cmp_gt_u32_e32 vcc, s0, v0
	s_movk_i32 s4, 0x64
.LBB88_1:                               ; =>This Inner Loop Header: Depth=1
	s_waitcnt vmcnt(0)
	v_pk_mov_b32 v[0:1], v[8:9], v[8:9] op_sel:[0,1]
	ds_write2_b32 v12, v6, v7 offset1:1
	v_pk_mov_b32 v[6:7], v[4:5], v[4:5] op_sel:[0,1]
	s_waitcnt lgkmcnt(0)
	s_barrier
	s_and_saveexec_b64 s[0:1], vcc
	s_cbranch_execz .LBB88_3
; %bb.2:                                ;   in Loop: Header=BB88_1 Depth=1
	ds_read2_b32 v[6:7], v12 offset0:2 offset1:3
.LBB88_3:                               ;   in Loop: Header=BB88_1 Depth=1
	s_or_b64 exec, exec, s[0:1]
	s_add_i32 s4, s4, -1
	s_cmp_lg_u32 s4, 0
	s_waitcnt lgkmcnt(0)
	s_barrier
	s_cbranch_scc0 .LBB88_5
; %bb.4:                                ;   in Loop: Header=BB88_1 Depth=1
	v_pk_mov_b32 v[8:9], v[2:3], v[2:3] op_sel:[0,1]
	v_pk_mov_b32 v[2:3], v[4:5], v[4:5] op_sel:[0,1]
	;; [unrolled: 1-line block ×4, first 2 shown]
	s_branch .LBB88_1
.LBB88_5:
	v_mov_b32_e32 v9, s3
	v_add_co_u32_e32 v8, vcc, s2, v10
	v_addc_co_u32_e32 v9, vcc, v9, v11, vcc
	global_store_dwordx4 v[8:9], v[0:3], off
	global_store_dwordx4 v[8:9], v[4:7], off offset:16
	s_endpgm
	.section	.rodata,"a",@progbits
	.p2align	6, 0x0
	.amdhsa_kernel _Z6kernelI4downN15benchmark_utils11custom_typeIffEELj256ELj4ELj100EEvPKT0_PS4_
		.amdhsa_group_segment_fixed_size 2048
		.amdhsa_private_segment_fixed_size 0
		.amdhsa_kernarg_size 16
		.amdhsa_user_sgpr_count 6
		.amdhsa_user_sgpr_private_segment_buffer 1
		.amdhsa_user_sgpr_dispatch_ptr 0
		.amdhsa_user_sgpr_queue_ptr 0
		.amdhsa_user_sgpr_kernarg_segment_ptr 1
		.amdhsa_user_sgpr_dispatch_id 0
		.amdhsa_user_sgpr_flat_scratch_init 0
		.amdhsa_user_sgpr_kernarg_preload_length 0
		.amdhsa_user_sgpr_kernarg_preload_offset 0
		.amdhsa_user_sgpr_private_segment_size 0
		.amdhsa_uses_dynamic_stack 0
		.amdhsa_system_sgpr_private_segment_wavefront_offset 0
		.amdhsa_system_sgpr_workgroup_id_x 1
		.amdhsa_system_sgpr_workgroup_id_y 0
		.amdhsa_system_sgpr_workgroup_id_z 0
		.amdhsa_system_sgpr_workgroup_info 0
		.amdhsa_system_vgpr_workitem_id 0
		.amdhsa_next_free_vgpr 14
		.amdhsa_next_free_sgpr 7
		.amdhsa_accum_offset 16
		.amdhsa_reserve_vcc 1
		.amdhsa_reserve_flat_scratch 0
		.amdhsa_float_round_mode_32 0
		.amdhsa_float_round_mode_16_64 0
		.amdhsa_float_denorm_mode_32 3
		.amdhsa_float_denorm_mode_16_64 3
		.amdhsa_dx10_clamp 1
		.amdhsa_ieee_mode 1
		.amdhsa_fp16_overflow 0
		.amdhsa_tg_split 0
		.amdhsa_exception_fp_ieee_invalid_op 0
		.amdhsa_exception_fp_denorm_src 0
		.amdhsa_exception_fp_ieee_div_zero 0
		.amdhsa_exception_fp_ieee_overflow 0
		.amdhsa_exception_fp_ieee_underflow 0
		.amdhsa_exception_fp_ieee_inexact 0
		.amdhsa_exception_int_div_zero 0
	.end_amdhsa_kernel
	.section	.text._Z6kernelI4downN15benchmark_utils11custom_typeIffEELj256ELj4ELj100EEvPKT0_PS4_,"axG",@progbits,_Z6kernelI4downN15benchmark_utils11custom_typeIffEELj256ELj4ELj100EEvPKT0_PS4_,comdat
.Lfunc_end88:
	.size	_Z6kernelI4downN15benchmark_utils11custom_typeIffEELj256ELj4ELj100EEvPKT0_PS4_, .Lfunc_end88-_Z6kernelI4downN15benchmark_utils11custom_typeIffEELj256ELj4ELj100EEvPKT0_PS4_
                                        ; -- End function
	.section	.AMDGPU.csdata,"",@progbits
; Kernel info:
; codeLenInByte = 224
; NumSgprs: 11
; NumVgprs: 14
; NumAgprs: 0
; TotalNumVgprs: 14
; ScratchSize: 0
; MemoryBound: 0
; FloatMode: 240
; IeeeMode: 1
; LDSByteSize: 2048 bytes/workgroup (compile time only)
; SGPRBlocks: 1
; VGPRBlocks: 1
; NumSGPRsForWavesPerEU: 11
; NumVGPRsForWavesPerEU: 14
; AccumOffset: 16
; Occupancy: 8
; WaveLimiterHint : 0
; COMPUTE_PGM_RSRC2:SCRATCH_EN: 0
; COMPUTE_PGM_RSRC2:USER_SGPR: 6
; COMPUTE_PGM_RSRC2:TRAP_HANDLER: 0
; COMPUTE_PGM_RSRC2:TGID_X_EN: 1
; COMPUTE_PGM_RSRC2:TGID_Y_EN: 0
; COMPUTE_PGM_RSRC2:TGID_Z_EN: 0
; COMPUTE_PGM_RSRC2:TIDIG_COMP_CNT: 0
; COMPUTE_PGM_RSRC3_GFX90A:ACCUM_OFFSET: 3
; COMPUTE_PGM_RSRC3_GFX90A:TG_SPLIT: 0
	.section	.text._Z6kernelI4downN15benchmark_utils11custom_typeIffEELj256ELj8ELj100EEvPKT0_PS4_,"axG",@progbits,_Z6kernelI4downN15benchmark_utils11custom_typeIffEELj256ELj8ELj100EEvPKT0_PS4_,comdat
	.protected	_Z6kernelI4downN15benchmark_utils11custom_typeIffEELj256ELj8ELj100EEvPKT0_PS4_ ; -- Begin function _Z6kernelI4downN15benchmark_utils11custom_typeIffEELj256ELj8ELj100EEvPKT0_PS4_
	.globl	_Z6kernelI4downN15benchmark_utils11custom_typeIffEELj256ELj8ELj100EEvPKT0_PS4_
	.p2align	8
	.type	_Z6kernelI4downN15benchmark_utils11custom_typeIffEELj256ELj8ELj100EEvPKT0_PS4_,@function
_Z6kernelI4downN15benchmark_utils11custom_typeIffEELj256ELj8ELj100EEvPKT0_PS4_: ; @_Z6kernelI4downN15benchmark_utils11custom_typeIffEELj256ELj8ELj100EEvPKT0_PS4_
; %bb.0:
	s_load_dwordx4 s[0:3], s[4:5], 0x0
	v_lshlrev_b32_e32 v1, 3, v0
	v_lshl_or_b32 v2, s6, 11, v1
	v_mov_b32_e32 v3, 0
	v_lshlrev_b64 v[20:21], 3, v[2:3]
	s_waitcnt lgkmcnt(0)
	v_mov_b32_e32 v2, s1
	v_add_co_u32_e32 v18, vcc, s0, v20
	v_addc_co_u32_e32 v19, vcc, v2, v21, vcc
	global_load_dwordx4 v[2:5], v[18:19], off offset:48
	global_load_dwordx4 v[6:9], v[18:19], off offset:32
	;; [unrolled: 1-line block ×3, first 2 shown]
	global_load_dwordx4 v[14:17], v[18:19], off
	s_movk_i32 s0, 0xff
	v_cmp_gt_u32_e32 vcc, s0, v0
	s_movk_i32 s4, 0x64
.LBB89_1:                               ; =>This Inner Loop Header: Depth=1
	s_waitcnt vmcnt(0)
	v_pk_mov_b32 v[18:19], v[16:17], v[16:17] op_sel:[0,1]
	ds_write2_b32 v1, v14, v15 offset1:1
	v_pk_mov_b32 v[14:15], v[4:5], v[4:5] op_sel:[0,1]
	s_waitcnt lgkmcnt(0)
	s_barrier
	s_and_saveexec_b64 s[0:1], vcc
	s_cbranch_execz .LBB89_3
; %bb.2:                                ;   in Loop: Header=BB89_1 Depth=1
	ds_read2_b32 v[14:15], v1 offset0:2 offset1:3
.LBB89_3:                               ;   in Loop: Header=BB89_1 Depth=1
	s_or_b64 exec, exec, s[0:1]
	s_add_i32 s4, s4, -1
	s_cmp_lg_u32 s4, 0
	s_waitcnt lgkmcnt(0)
	s_barrier
	s_cbranch_scc0 .LBB89_5
; %bb.4:                                ;   in Loop: Header=BB89_1 Depth=1
	v_pk_mov_b32 v[16:17], v[10:11], v[10:11] op_sel:[0,1]
	v_pk_mov_b32 v[10:11], v[12:13], v[12:13] op_sel:[0,1]
	;; [unrolled: 1-line block ×8, first 2 shown]
	s_branch .LBB89_1
.LBB89_5:
	v_mov_b32_e32 v0, s3
	v_add_co_u32_e32 v16, vcc, s2, v20
	v_addc_co_u32_e32 v17, vcc, v0, v21, vcc
	v_mov_b32_e32 v20, v10
	v_mov_b32_e32 v21, v11
	;; [unrolled: 1-line block ×6, first 2 shown]
	global_store_dwordx4 v[16:17], v[10:13], off offset:16
	v_mov_b32_e32 v0, v8
	v_mov_b32_e32 v1, v9
	;; [unrolled: 1-line block ×4, first 2 shown]
	global_store_dwordx4 v[16:17], v[18:21], off
	global_store_dwordx4 v[16:17], v[0:3], off offset:32
	global_store_dwordx4 v[16:17], v[12:15], off offset:48
	s_endpgm
	.section	.rodata,"a",@progbits
	.p2align	6, 0x0
	.amdhsa_kernel _Z6kernelI4downN15benchmark_utils11custom_typeIffEELj256ELj8ELj100EEvPKT0_PS4_
		.amdhsa_group_segment_fixed_size 2048
		.amdhsa_private_segment_fixed_size 0
		.amdhsa_kernarg_size 16
		.amdhsa_user_sgpr_count 6
		.amdhsa_user_sgpr_private_segment_buffer 1
		.amdhsa_user_sgpr_dispatch_ptr 0
		.amdhsa_user_sgpr_queue_ptr 0
		.amdhsa_user_sgpr_kernarg_segment_ptr 1
		.amdhsa_user_sgpr_dispatch_id 0
		.amdhsa_user_sgpr_flat_scratch_init 0
		.amdhsa_user_sgpr_kernarg_preload_length 0
		.amdhsa_user_sgpr_kernarg_preload_offset 0
		.amdhsa_user_sgpr_private_segment_size 0
		.amdhsa_uses_dynamic_stack 0
		.amdhsa_system_sgpr_private_segment_wavefront_offset 0
		.amdhsa_system_sgpr_workgroup_id_x 1
		.amdhsa_system_sgpr_workgroup_id_y 0
		.amdhsa_system_sgpr_workgroup_id_z 0
		.amdhsa_system_sgpr_workgroup_info 0
		.amdhsa_system_vgpr_workitem_id 0
		.amdhsa_next_free_vgpr 22
		.amdhsa_next_free_sgpr 7
		.amdhsa_accum_offset 24
		.amdhsa_reserve_vcc 1
		.amdhsa_reserve_flat_scratch 0
		.amdhsa_float_round_mode_32 0
		.amdhsa_float_round_mode_16_64 0
		.amdhsa_float_denorm_mode_32 3
		.amdhsa_float_denorm_mode_16_64 3
		.amdhsa_dx10_clamp 1
		.amdhsa_ieee_mode 1
		.amdhsa_fp16_overflow 0
		.amdhsa_tg_split 0
		.amdhsa_exception_fp_ieee_invalid_op 0
		.amdhsa_exception_fp_denorm_src 0
		.amdhsa_exception_fp_ieee_div_zero 0
		.amdhsa_exception_fp_ieee_overflow 0
		.amdhsa_exception_fp_ieee_underflow 0
		.amdhsa_exception_fp_ieee_inexact 0
		.amdhsa_exception_int_div_zero 0
	.end_amdhsa_kernel
	.section	.text._Z6kernelI4downN15benchmark_utils11custom_typeIffEELj256ELj8ELj100EEvPKT0_PS4_,"axG",@progbits,_Z6kernelI4downN15benchmark_utils11custom_typeIffEELj256ELj8ELj100EEvPKT0_PS4_,comdat
.Lfunc_end89:
	.size	_Z6kernelI4downN15benchmark_utils11custom_typeIffEELj256ELj8ELj100EEvPKT0_PS4_, .Lfunc_end89-_Z6kernelI4downN15benchmark_utils11custom_typeIffEELj256ELj8ELj100EEvPKT0_PS4_
                                        ; -- End function
	.section	.AMDGPU.csdata,"",@progbits
; Kernel info:
; codeLenInByte = 324
; NumSgprs: 11
; NumVgprs: 22
; NumAgprs: 0
; TotalNumVgprs: 22
; ScratchSize: 0
; MemoryBound: 1
; FloatMode: 240
; IeeeMode: 1
; LDSByteSize: 2048 bytes/workgroup (compile time only)
; SGPRBlocks: 1
; VGPRBlocks: 2
; NumSGPRsForWavesPerEU: 11
; NumVGPRsForWavesPerEU: 22
; AccumOffset: 24
; Occupancy: 8
; WaveLimiterHint : 0
; COMPUTE_PGM_RSRC2:SCRATCH_EN: 0
; COMPUTE_PGM_RSRC2:USER_SGPR: 6
; COMPUTE_PGM_RSRC2:TRAP_HANDLER: 0
; COMPUTE_PGM_RSRC2:TGID_X_EN: 1
; COMPUTE_PGM_RSRC2:TGID_Y_EN: 0
; COMPUTE_PGM_RSRC2:TGID_Z_EN: 0
; COMPUTE_PGM_RSRC2:TIDIG_COMP_CNT: 0
; COMPUTE_PGM_RSRC3_GFX90A:ACCUM_OFFSET: 5
; COMPUTE_PGM_RSRC3_GFX90A:TG_SPLIT: 0
	.section	.text._Z6kernelI4downN15benchmark_utils11custom_typeIffEELj256ELj16ELj100EEvPKT0_PS4_,"axG",@progbits,_Z6kernelI4downN15benchmark_utils11custom_typeIffEELj256ELj16ELj100EEvPKT0_PS4_,comdat
	.protected	_Z6kernelI4downN15benchmark_utils11custom_typeIffEELj256ELj16ELj100EEvPKT0_PS4_ ; -- Begin function _Z6kernelI4downN15benchmark_utils11custom_typeIffEELj256ELj16ELj100EEvPKT0_PS4_
	.globl	_Z6kernelI4downN15benchmark_utils11custom_typeIffEELj256ELj16ELj100EEvPKT0_PS4_
	.p2align	8
	.type	_Z6kernelI4downN15benchmark_utils11custom_typeIffEELj256ELj16ELj100EEvPKT0_PS4_,@function
_Z6kernelI4downN15benchmark_utils11custom_typeIffEELj256ELj16ELj100EEvPKT0_PS4_: ; @_Z6kernelI4downN15benchmark_utils11custom_typeIffEELj256ELj16ELj100EEvPKT0_PS4_
; %bb.0:
	s_load_dwordx4 s[0:3], s[4:5], 0x0
	v_lshlrev_b32_e32 v1, 4, v0
	v_lshl_or_b32 v2, s6, 12, v1
	v_mov_b32_e32 v3, 0
	v_lshlrev_b64 v[36:37], 3, v[2:3]
	s_waitcnt lgkmcnt(0)
	v_mov_b32_e32 v1, s1
	v_add_co_u32_e32 v34, vcc, s0, v36
	v_addc_co_u32_e32 v35, vcc, v1, v37, vcc
	global_load_dwordx4 v[2:5], v[34:35], off offset:48
	global_load_dwordx4 v[10:13], v[34:35], off offset:32
	;; [unrolled: 1-line block ×3, first 2 shown]
	global_load_dwordx4 v[30:33], v[34:35], off
	global_load_dwordx4 v[6:9], v[34:35], off offset:112
	global_load_dwordx4 v[14:17], v[34:35], off offset:96
	;; [unrolled: 1-line block ×4, first 2 shown]
	s_movk_i32 s0, 0xff
	v_lshlrev_b32_e32 v1, 3, v0
	v_cmp_gt_u32_e32 vcc, s0, v0
	s_movk_i32 s4, 0x64
.LBB90_1:                               ; =>This Inner Loop Header: Depth=1
	s_waitcnt vmcnt(4)
	v_pk_mov_b32 v[34:35], v[32:33], v[32:33] op_sel:[0,1]
	ds_write2_b32 v1, v30, v31 offset1:1
	s_waitcnt vmcnt(3)
	v_pk_mov_b32 v[30:31], v[8:9], v[8:9] op_sel:[0,1]
	s_waitcnt lgkmcnt(0)
	s_barrier
	s_and_saveexec_b64 s[0:1], vcc
	s_cbranch_execz .LBB90_3
; %bb.2:                                ;   in Loop: Header=BB90_1 Depth=1
	ds_read2_b32 v[30:31], v1 offset0:2 offset1:3
.LBB90_3:                               ;   in Loop: Header=BB90_1 Depth=1
	s_or_b64 exec, exec, s[0:1]
	s_add_i32 s4, s4, -1
	s_cmp_lg_u32 s4, 0
	s_waitcnt lgkmcnt(0)
	s_barrier
	s_cbranch_scc0 .LBB90_5
; %bb.4:                                ;   in Loop: Header=BB90_1 Depth=1
	v_pk_mov_b32 v[32:33], v[18:19], v[18:19] op_sel:[0,1]
	v_pk_mov_b32 v[18:19], v[20:21], v[20:21] op_sel:[0,1]
	;; [unrolled: 1-line block ×6, first 2 shown]
	s_waitcnt vmcnt(0)
	v_pk_mov_b32 v[4:5], v[26:27], v[26:27] op_sel:[0,1]
	v_pk_mov_b32 v[26:27], v[28:29], v[28:29] op_sel:[0,1]
	;; [unrolled: 1-line block ×10, first 2 shown]
	s_branch .LBB90_1
.LBB90_5:
	v_mov_b32_e32 v0, s3
	v_add_co_u32_e32 v32, vcc, s2, v36
	v_addc_co_u32_e32 v33, vcc, v0, v37, vcc
	v_mov_b32_e32 v0, v12
	v_mov_b32_e32 v1, v13
	global_store_dwordx4 v[32:33], v[0:3], off offset:32
	v_mov_b32_e32 v36, v18
	v_mov_b32_e32 v0, v4
	;; [unrolled: 1-line block ×3, first 2 shown]
	s_waitcnt vmcnt(1)
	v_mov_b32_e32 v2, v26
	v_mov_b32_e32 v3, v27
	global_store_dwordx4 v[32:33], v[0:3], off offset:48
	v_mov_b32_e32 v37, v19
	v_mov_b32_e32 v0, v28
	;; [unrolled: 1-line block ×5, first 2 shown]
	global_store_dwordx4 v[32:33], v[0:3], off offset:64
	v_mov_b32_e32 v18, v20
	v_mov_b32_e32 v0, v24
	;; [unrolled: 1-line block ×8, first 2 shown]
	global_store_dwordx4 v[32:33], v[0:3], off offset:80
	v_mov_b32_e32 v28, v8
	v_mov_b32_e32 v0, v16
	;; [unrolled: 1-line block ×6, first 2 shown]
	global_store_dwordx4 v[32:33], v[34:37], off
	global_store_dwordx4 v[32:33], v[18:21], off offset:16
	global_store_dwordx4 v[32:33], v[0:3], off offset:96
	global_store_dwordx4 v[32:33], v[28:31], off offset:112
	s_endpgm
	.section	.rodata,"a",@progbits
	.p2align	6, 0x0
	.amdhsa_kernel _Z6kernelI4downN15benchmark_utils11custom_typeIffEELj256ELj16ELj100EEvPKT0_PS4_
		.amdhsa_group_segment_fixed_size 2048
		.amdhsa_private_segment_fixed_size 0
		.amdhsa_kernarg_size 16
		.amdhsa_user_sgpr_count 6
		.amdhsa_user_sgpr_private_segment_buffer 1
		.amdhsa_user_sgpr_dispatch_ptr 0
		.amdhsa_user_sgpr_queue_ptr 0
		.amdhsa_user_sgpr_kernarg_segment_ptr 1
		.amdhsa_user_sgpr_dispatch_id 0
		.amdhsa_user_sgpr_flat_scratch_init 0
		.amdhsa_user_sgpr_kernarg_preload_length 0
		.amdhsa_user_sgpr_kernarg_preload_offset 0
		.amdhsa_user_sgpr_private_segment_size 0
		.amdhsa_uses_dynamic_stack 0
		.amdhsa_system_sgpr_private_segment_wavefront_offset 0
		.amdhsa_system_sgpr_workgroup_id_x 1
		.amdhsa_system_sgpr_workgroup_id_y 0
		.amdhsa_system_sgpr_workgroup_id_z 0
		.amdhsa_system_sgpr_workgroup_info 0
		.amdhsa_system_vgpr_workitem_id 0
		.amdhsa_next_free_vgpr 38
		.amdhsa_next_free_sgpr 7
		.amdhsa_accum_offset 40
		.amdhsa_reserve_vcc 1
		.amdhsa_reserve_flat_scratch 0
		.amdhsa_float_round_mode_32 0
		.amdhsa_float_round_mode_16_64 0
		.amdhsa_float_denorm_mode_32 3
		.amdhsa_float_denorm_mode_16_64 3
		.amdhsa_dx10_clamp 1
		.amdhsa_ieee_mode 1
		.amdhsa_fp16_overflow 0
		.amdhsa_tg_split 0
		.amdhsa_exception_fp_ieee_invalid_op 0
		.amdhsa_exception_fp_denorm_src 0
		.amdhsa_exception_fp_ieee_div_zero 0
		.amdhsa_exception_fp_ieee_overflow 0
		.amdhsa_exception_fp_ieee_underflow 0
		.amdhsa_exception_fp_ieee_inexact 0
		.amdhsa_exception_int_div_zero 0
	.end_amdhsa_kernel
	.section	.text._Z6kernelI4downN15benchmark_utils11custom_typeIffEELj256ELj16ELj100EEvPKT0_PS4_,"axG",@progbits,_Z6kernelI4downN15benchmark_utils11custom_typeIffEELj256ELj16ELj100EEvPKT0_PS4_,comdat
.Lfunc_end90:
	.size	_Z6kernelI4downN15benchmark_utils11custom_typeIffEELj256ELj16ELj100EEvPKT0_PS4_, .Lfunc_end90-_Z6kernelI4downN15benchmark_utils11custom_typeIffEELj256ELj16ELj100EEvPKT0_PS4_
                                        ; -- End function
	.section	.AMDGPU.csdata,"",@progbits
; Kernel info:
; codeLenInByte = 532
; NumSgprs: 11
; NumVgprs: 38
; NumAgprs: 0
; TotalNumVgprs: 38
; ScratchSize: 0
; MemoryBound: 1
; FloatMode: 240
; IeeeMode: 1
; LDSByteSize: 2048 bytes/workgroup (compile time only)
; SGPRBlocks: 1
; VGPRBlocks: 4
; NumSGPRsForWavesPerEU: 11
; NumVGPRsForWavesPerEU: 38
; AccumOffset: 40
; Occupancy: 8
; WaveLimiterHint : 0
; COMPUTE_PGM_RSRC2:SCRATCH_EN: 0
; COMPUTE_PGM_RSRC2:USER_SGPR: 6
; COMPUTE_PGM_RSRC2:TRAP_HANDLER: 0
; COMPUTE_PGM_RSRC2:TGID_X_EN: 1
; COMPUTE_PGM_RSRC2:TGID_Y_EN: 0
; COMPUTE_PGM_RSRC2:TGID_Z_EN: 0
; COMPUTE_PGM_RSRC2:TIDIG_COMP_CNT: 0
; COMPUTE_PGM_RSRC3_GFX90A:ACCUM_OFFSET: 9
; COMPUTE_PGM_RSRC3_GFX90A:TG_SPLIT: 0
	.section	.text._Z6kernelI4downN15benchmark_utils11custom_typeIffEELj256ELj32ELj100EEvPKT0_PS4_,"axG",@progbits,_Z6kernelI4downN15benchmark_utils11custom_typeIffEELj256ELj32ELj100EEvPKT0_PS4_,comdat
	.protected	_Z6kernelI4downN15benchmark_utils11custom_typeIffEELj256ELj32ELj100EEvPKT0_PS4_ ; -- Begin function _Z6kernelI4downN15benchmark_utils11custom_typeIffEELj256ELj32ELj100EEvPKT0_PS4_
	.globl	_Z6kernelI4downN15benchmark_utils11custom_typeIffEELj256ELj32ELj100EEvPKT0_PS4_
	.p2align	8
	.type	_Z6kernelI4downN15benchmark_utils11custom_typeIffEELj256ELj32ELj100EEvPKT0_PS4_,@function
_Z6kernelI4downN15benchmark_utils11custom_typeIffEELj256ELj32ELj100EEvPKT0_PS4_: ; @_Z6kernelI4downN15benchmark_utils11custom_typeIffEELj256ELj32ELj100EEvPKT0_PS4_
; %bb.0:
	s_load_dwordx4 s[0:3], s[4:5], 0x0
	v_lshlrev_b32_e32 v1, 5, v0
	v_lshl_or_b32 v2, s6, 13, v1
	v_mov_b32_e32 v3, 0
	v_lshlrev_b64 v[68:69], 3, v[2:3]
	s_waitcnt lgkmcnt(0)
	v_mov_b32_e32 v1, s1
	v_add_co_u32_e32 v58, vcc, s0, v68
	v_addc_co_u32_e32 v59, vcc, v1, v69, vcc
	global_load_dwordx4 v[2:5], v[58:59], off offset:48
	global_load_dwordx4 v[10:13], v[58:59], off offset:32
	;; [unrolled: 1-line block ×3, first 2 shown]
	global_load_dwordx4 v[62:65], v[58:59], off
	global_load_dwordx4 v[6:9], v[58:59], off offset:112
	global_load_dwordx4 v[18:21], v[58:59], off offset:96
	;; [unrolled: 1-line block ×11, first 2 shown]
	s_nop 0
	global_load_dwordx4 v[58:61], v[58:59], off offset:192
	s_movk_i32 s0, 0xff
	v_lshlrev_b32_e32 v1, 3, v0
	v_cmp_gt_u32_e32 vcc, s0, v0
	s_movk_i32 s4, 0x64
.LBB91_1:                               ; =>This Inner Loop Header: Depth=1
	s_waitcnt vmcnt(12)
	v_pk_mov_b32 v[66:67], v[64:65], v[64:65] op_sel:[0,1]
	ds_write2_b32 v1, v62, v63 offset1:1
	s_waitcnt vmcnt(3)
	v_pk_mov_b32 v[62:63], v[24:25], v[24:25] op_sel:[0,1]
	s_waitcnt lgkmcnt(0)
	s_barrier
	s_and_saveexec_b64 s[0:1], vcc
	s_cbranch_execz .LBB91_3
; %bb.2:                                ;   in Loop: Header=BB91_1 Depth=1
	ds_read2_b32 v[62:63], v1 offset0:2 offset1:3
.LBB91_3:                               ;   in Loop: Header=BB91_1 Depth=1
	s_or_b64 exec, exec, s[0:1]
	s_add_i32 s4, s4, -1
	s_cmp_lg_u32 s4, 0
	s_waitcnt lgkmcnt(0)
	s_barrier
	s_cbranch_scc0 .LBB91_5
; %bb.4:                                ;   in Loop: Header=BB91_1 Depth=1
	v_pk_mov_b32 v[64:65], v[26:27], v[26:27] op_sel:[0,1]
	v_pk_mov_b32 v[26:27], v[28:29], v[28:29] op_sel:[0,1]
	;; [unrolled: 1-line block ×22, first 2 shown]
	s_waitcnt vmcnt(0)
	v_pk_mov_b32 v[16:17], v[58:59], v[58:59] op_sel:[0,1]
	v_pk_mov_b32 v[58:59], v[60:61], v[60:61] op_sel:[0,1]
	;; [unrolled: 1-line block ×10, first 2 shown]
	s_branch .LBB91_1
.LBB91_5:
	v_mov_b32_e32 v0, s3
	v_add_co_u32_e32 v64, vcc, s2, v68
	v_addc_co_u32_e32 v65, vcc, v0, v69, vcc
	v_mov_b32_e32 v0, v12
	v_mov_b32_e32 v1, v13
	global_store_dwordx4 v[64:65], v[0:3], off offset:32
	v_mov_b32_e32 v68, v26
	v_mov_b32_e32 v0, v4
	v_mov_b32_e32 v1, v5
	v_mov_b32_e32 v2, v46
	v_mov_b32_e32 v3, v47
	global_store_dwordx4 v[64:65], v[0:3], off offset:48
	v_mov_b32_e32 v69, v27
	v_mov_b32_e32 v0, v48
	v_mov_b32_e32 v1, v49
	;; [unrolled: 6-line block ×6, first 2 shown]
	v_mov_b32_e32 v2, v42
	v_mov_b32_e32 v3, v43
	global_store_dwordx4 v[64:65], v[0:3], off offset:128
	global_store_dwordx4 v[64:65], v[66:69], off
	v_mov_b32_e32 v0, v44
	v_mov_b32_e32 v1, v45
	;; [unrolled: 1-line block ×4, first 2 shown]
	global_store_dwordx4 v[64:65], v[0:3], off offset:144
	global_store_dwordx4 v[64:65], v[26:29], off offset:16
	v_mov_b32_e32 v0, v32
	v_mov_b32_e32 v1, v33
	;; [unrolled: 1-line block ×4, first 2 shown]
	global_store_dwordx4 v[64:65], v[0:3], off offset:160
	s_nop 0
	v_mov_b32_e32 v0, v16
	v_mov_b32_e32 v1, v17
	s_waitcnt vmcnt(11)
	v_mov_b32_e32 v2, v58
	v_mov_b32_e32 v3, v59
	global_store_dwordx4 v[64:65], v[0:3], off offset:176
	s_nop 0
	v_mov_b32_e32 v0, v60
	v_mov_b32_e32 v1, v61
	;; [unrolled: 1-line block ×4, first 2 shown]
	global_store_dwordx4 v[64:65], v[0:3], off offset:192
	v_mov_b32_e32 v60, v24
	v_mov_b32_e32 v0, v52
	v_mov_b32_e32 v1, v53
	v_mov_b32_e32 v2, v38
	v_mov_b32_e32 v3, v39
	global_store_dwordx4 v[64:65], v[0:3], off offset:208
	v_mov_b32_e32 v61, v25
	v_mov_b32_e32 v0, v40
	;; [unrolled: 1-line block ×5, first 2 shown]
	global_store_dwordx4 v[64:65], v[0:3], off offset:224
	global_store_dwordx4 v[64:65], v[60:63], off offset:240
	s_endpgm
	.section	.rodata,"a",@progbits
	.p2align	6, 0x0
	.amdhsa_kernel _Z6kernelI4downN15benchmark_utils11custom_typeIffEELj256ELj32ELj100EEvPKT0_PS4_
		.amdhsa_group_segment_fixed_size 2048
		.amdhsa_private_segment_fixed_size 0
		.amdhsa_kernarg_size 16
		.amdhsa_user_sgpr_count 6
		.amdhsa_user_sgpr_private_segment_buffer 1
		.amdhsa_user_sgpr_dispatch_ptr 0
		.amdhsa_user_sgpr_queue_ptr 0
		.amdhsa_user_sgpr_kernarg_segment_ptr 1
		.amdhsa_user_sgpr_dispatch_id 0
		.amdhsa_user_sgpr_flat_scratch_init 0
		.amdhsa_user_sgpr_kernarg_preload_length 0
		.amdhsa_user_sgpr_kernarg_preload_offset 0
		.amdhsa_user_sgpr_private_segment_size 0
		.amdhsa_uses_dynamic_stack 0
		.amdhsa_system_sgpr_private_segment_wavefront_offset 0
		.amdhsa_system_sgpr_workgroup_id_x 1
		.amdhsa_system_sgpr_workgroup_id_y 0
		.amdhsa_system_sgpr_workgroup_id_z 0
		.amdhsa_system_sgpr_workgroup_info 0
		.amdhsa_system_vgpr_workitem_id 0
		.amdhsa_next_free_vgpr 70
		.amdhsa_next_free_sgpr 7
		.amdhsa_accum_offset 72
		.amdhsa_reserve_vcc 1
		.amdhsa_reserve_flat_scratch 0
		.amdhsa_float_round_mode_32 0
		.amdhsa_float_round_mode_16_64 0
		.amdhsa_float_denorm_mode_32 3
		.amdhsa_float_denorm_mode_16_64 3
		.amdhsa_dx10_clamp 1
		.amdhsa_ieee_mode 1
		.amdhsa_fp16_overflow 0
		.amdhsa_tg_split 0
		.amdhsa_exception_fp_ieee_invalid_op 0
		.amdhsa_exception_fp_denorm_src 0
		.amdhsa_exception_fp_ieee_div_zero 0
		.amdhsa_exception_fp_ieee_overflow 0
		.amdhsa_exception_fp_ieee_underflow 0
		.amdhsa_exception_fp_ieee_inexact 0
		.amdhsa_exception_int_div_zero 0
	.end_amdhsa_kernel
	.section	.text._Z6kernelI4downN15benchmark_utils11custom_typeIffEELj256ELj32ELj100EEvPKT0_PS4_,"axG",@progbits,_Z6kernelI4downN15benchmark_utils11custom_typeIffEELj256ELj32ELj100EEvPKT0_PS4_,comdat
.Lfunc_end91:
	.size	_Z6kernelI4downN15benchmark_utils11custom_typeIffEELj256ELj32ELj100EEvPKT0_PS4_, .Lfunc_end91-_Z6kernelI4downN15benchmark_utils11custom_typeIffEELj256ELj32ELj100EEvPKT0_PS4_
                                        ; -- End function
	.section	.AMDGPU.csdata,"",@progbits
; Kernel info:
; codeLenInByte = 928
; NumSgprs: 11
; NumVgprs: 70
; NumAgprs: 0
; TotalNumVgprs: 70
; ScratchSize: 0
; MemoryBound: 1
; FloatMode: 240
; IeeeMode: 1
; LDSByteSize: 2048 bytes/workgroup (compile time only)
; SGPRBlocks: 1
; VGPRBlocks: 8
; NumSGPRsForWavesPerEU: 11
; NumVGPRsForWavesPerEU: 70
; AccumOffset: 72
; Occupancy: 7
; WaveLimiterHint : 0
; COMPUTE_PGM_RSRC2:SCRATCH_EN: 0
; COMPUTE_PGM_RSRC2:USER_SGPR: 6
; COMPUTE_PGM_RSRC2:TRAP_HANDLER: 0
; COMPUTE_PGM_RSRC2:TGID_X_EN: 1
; COMPUTE_PGM_RSRC2:TGID_Y_EN: 0
; COMPUTE_PGM_RSRC2:TGID_Z_EN: 0
; COMPUTE_PGM_RSRC2:TIDIG_COMP_CNT: 0
; COMPUTE_PGM_RSRC3_GFX90A:ACCUM_OFFSET: 17
; COMPUTE_PGM_RSRC3_GFX90A:TG_SPLIT: 0
	.section	.text._Z6kernelI4downN15benchmark_utils11custom_typeIddEELj256ELj1ELj100EEvPKT0_PS4_,"axG",@progbits,_Z6kernelI4downN15benchmark_utils11custom_typeIddEELj256ELj1ELj100EEvPKT0_PS4_,comdat
	.protected	_Z6kernelI4downN15benchmark_utils11custom_typeIddEELj256ELj1ELj100EEvPKT0_PS4_ ; -- Begin function _Z6kernelI4downN15benchmark_utils11custom_typeIddEELj256ELj1ELj100EEvPKT0_PS4_
	.globl	_Z6kernelI4downN15benchmark_utils11custom_typeIddEELj256ELj1ELj100EEvPKT0_PS4_
	.p2align	8
	.type	_Z6kernelI4downN15benchmark_utils11custom_typeIddEELj256ELj1ELj100EEvPKT0_PS4_,@function
_Z6kernelI4downN15benchmark_utils11custom_typeIddEELj256ELj1ELj100EEvPKT0_PS4_: ; @_Z6kernelI4downN15benchmark_utils11custom_typeIddEELj256ELj1ELj100EEvPKT0_PS4_
; %bb.0:
	s_load_dwordx4 s[0:3], s[4:5], 0x0
	v_lshl_or_b32 v2, s6, 8, v0
	v_mov_b32_e32 v3, 0
	v_lshlrev_b64 v[6:7], 4, v[2:3]
	s_movk_i32 s4, 0x64
	s_waitcnt lgkmcnt(0)
	v_mov_b32_e32 v1, s1
	v_add_co_u32_e32 v2, vcc, s0, v6
	v_addc_co_u32_e32 v3, vcc, v1, v7, vcc
	global_load_dwordx4 v[2:5], v[2:3], off
	s_movk_i32 s0, 0xff
	v_lshlrev_b32_e32 v1, 4, v0
	v_cmp_gt_u32_e32 vcc, s0, v0
	s_branch .LBB92_2
.LBB92_1:                               ;   in Loop: Header=BB92_2 Depth=1
	s_or_b64 exec, exec, s[0:1]
	s_add_i32 s4, s4, -1
	s_cmp_lg_u32 s4, 0
	s_waitcnt lgkmcnt(0)
	s_barrier
	s_cbranch_scc0 .LBB92_4
.LBB92_2:                               ; =>This Inner Loop Header: Depth=1
	s_waitcnt vmcnt(0)
	ds_write2_b64 v1, v[2:3], v[4:5] offset1:1
	s_waitcnt lgkmcnt(0)
	s_barrier
	s_and_saveexec_b64 s[0:1], vcc
	s_cbranch_execz .LBB92_1
; %bb.3:                                ;   in Loop: Header=BB92_2 Depth=1
	ds_read2_b64 v[2:5], v1 offset0:2 offset1:3
	s_branch .LBB92_1
.LBB92_4:
	v_mov_b32_e32 v1, s3
	v_add_co_u32_e32 v0, vcc, s2, v6
	v_addc_co_u32_e32 v1, vcc, v1, v7, vcc
	global_store_dwordx4 v[0:1], v[2:5], off
	s_endpgm
	.section	.rodata,"a",@progbits
	.p2align	6, 0x0
	.amdhsa_kernel _Z6kernelI4downN15benchmark_utils11custom_typeIddEELj256ELj1ELj100EEvPKT0_PS4_
		.amdhsa_group_segment_fixed_size 4096
		.amdhsa_private_segment_fixed_size 0
		.amdhsa_kernarg_size 16
		.amdhsa_user_sgpr_count 6
		.amdhsa_user_sgpr_private_segment_buffer 1
		.amdhsa_user_sgpr_dispatch_ptr 0
		.amdhsa_user_sgpr_queue_ptr 0
		.amdhsa_user_sgpr_kernarg_segment_ptr 1
		.amdhsa_user_sgpr_dispatch_id 0
		.amdhsa_user_sgpr_flat_scratch_init 0
		.amdhsa_user_sgpr_kernarg_preload_length 0
		.amdhsa_user_sgpr_kernarg_preload_offset 0
		.amdhsa_user_sgpr_private_segment_size 0
		.amdhsa_uses_dynamic_stack 0
		.amdhsa_system_sgpr_private_segment_wavefront_offset 0
		.amdhsa_system_sgpr_workgroup_id_x 1
		.amdhsa_system_sgpr_workgroup_id_y 0
		.amdhsa_system_sgpr_workgroup_id_z 0
		.amdhsa_system_sgpr_workgroup_info 0
		.amdhsa_system_vgpr_workitem_id 0
		.amdhsa_next_free_vgpr 8
		.amdhsa_next_free_sgpr 7
		.amdhsa_accum_offset 8
		.amdhsa_reserve_vcc 1
		.amdhsa_reserve_flat_scratch 0
		.amdhsa_float_round_mode_32 0
		.amdhsa_float_round_mode_16_64 0
		.amdhsa_float_denorm_mode_32 3
		.amdhsa_float_denorm_mode_16_64 3
		.amdhsa_dx10_clamp 1
		.amdhsa_ieee_mode 1
		.amdhsa_fp16_overflow 0
		.amdhsa_tg_split 0
		.amdhsa_exception_fp_ieee_invalid_op 0
		.amdhsa_exception_fp_denorm_src 0
		.amdhsa_exception_fp_ieee_div_zero 0
		.amdhsa_exception_fp_ieee_overflow 0
		.amdhsa_exception_fp_ieee_underflow 0
		.amdhsa_exception_fp_ieee_inexact 0
		.amdhsa_exception_int_div_zero 0
	.end_amdhsa_kernel
	.section	.text._Z6kernelI4downN15benchmark_utils11custom_typeIddEELj256ELj1ELj100EEvPKT0_PS4_,"axG",@progbits,_Z6kernelI4downN15benchmark_utils11custom_typeIddEELj256ELj1ELj100EEvPKT0_PS4_,comdat
.Lfunc_end92:
	.size	_Z6kernelI4downN15benchmark_utils11custom_typeIddEELj256ELj1ELj100EEvPKT0_PS4_, .Lfunc_end92-_Z6kernelI4downN15benchmark_utils11custom_typeIddEELj256ELj1ELj100EEvPKT0_PS4_
                                        ; -- End function
	.section	.AMDGPU.csdata,"",@progbits
; Kernel info:
; codeLenInByte = 160
; NumSgprs: 11
; NumVgprs: 8
; NumAgprs: 0
; TotalNumVgprs: 8
; ScratchSize: 0
; MemoryBound: 0
; FloatMode: 240
; IeeeMode: 1
; LDSByteSize: 4096 bytes/workgroup (compile time only)
; SGPRBlocks: 1
; VGPRBlocks: 0
; NumSGPRsForWavesPerEU: 11
; NumVGPRsForWavesPerEU: 8
; AccumOffset: 8
; Occupancy: 8
; WaveLimiterHint : 0
; COMPUTE_PGM_RSRC2:SCRATCH_EN: 0
; COMPUTE_PGM_RSRC2:USER_SGPR: 6
; COMPUTE_PGM_RSRC2:TRAP_HANDLER: 0
; COMPUTE_PGM_RSRC2:TGID_X_EN: 1
; COMPUTE_PGM_RSRC2:TGID_Y_EN: 0
; COMPUTE_PGM_RSRC2:TGID_Z_EN: 0
; COMPUTE_PGM_RSRC2:TIDIG_COMP_CNT: 0
; COMPUTE_PGM_RSRC3_GFX90A:ACCUM_OFFSET: 1
; COMPUTE_PGM_RSRC3_GFX90A:TG_SPLIT: 0
	.section	.text._Z6kernelI4downN15benchmark_utils11custom_typeIddEELj256ELj3ELj100EEvPKT0_PS4_,"axG",@progbits,_Z6kernelI4downN15benchmark_utils11custom_typeIddEELj256ELj3ELj100EEvPKT0_PS4_,comdat
	.protected	_Z6kernelI4downN15benchmark_utils11custom_typeIddEELj256ELj3ELj100EEvPKT0_PS4_ ; -- Begin function _Z6kernelI4downN15benchmark_utils11custom_typeIddEELj256ELj3ELj100EEvPKT0_PS4_
	.globl	_Z6kernelI4downN15benchmark_utils11custom_typeIddEELj256ELj3ELj100EEvPKT0_PS4_
	.p2align	8
	.type	_Z6kernelI4downN15benchmark_utils11custom_typeIddEELj256ELj3ELj100EEvPKT0_PS4_,@function
_Z6kernelI4downN15benchmark_utils11custom_typeIddEELj256ELj3ELj100EEvPKT0_PS4_: ; @_Z6kernelI4downN15benchmark_utils11custom_typeIddEELj256ELj3ELj100EEvPKT0_PS4_
; %bb.0:
	s_load_dwordx4 s[0:3], s[4:5], 0x0
	v_lshl_or_b32 v1, s6, 8, v0
	v_lshl_add_u32 v10, v1, 1, v1
	v_mov_b32_e32 v11, 0
	v_lshlrev_b64 v[14:15], 4, v[10:11]
	s_waitcnt lgkmcnt(0)
	v_mov_b32_e32 v1, s1
	v_add_co_u32_e32 v12, vcc, s0, v14
	v_add_u32_e32 v2, 1, v10
	v_mov_b32_e32 v3, v11
	v_addc_co_u32_e32 v13, vcc, v1, v15, vcc
	v_lshlrev_b64 v[16:17], 4, v[2:3]
	v_add_co_u32_e32 v18, vcc, s0, v16
	v_addc_co_u32_e32 v19, vcc, v1, v17, vcc
	v_add_u32_e32 v10, 2, v10
	global_load_dwordx4 v[6:9], v[12:13], off
	global_load_dwordx4 v[2:5], v[18:19], off
	v_lshlrev_b64 v[18:19], 4, v[10:11]
	v_add_co_u32_e32 v10, vcc, s0, v18
	v_addc_co_u32_e32 v11, vcc, v1, v19, vcc
	global_load_dwordx4 v[10:13], v[10:11], off
	s_movk_i32 s0, 0xff
	v_lshlrev_b32_e32 v20, 4, v0
	v_cmp_gt_u32_e32 vcc, s0, v0
	s_movk_i32 s4, 0x64
	s_branch .LBB93_2
.LBB93_1:                               ;   in Loop: Header=BB93_2 Depth=1
	s_or_b64 exec, exec, s[0:1]
	s_add_i32 s4, s4, -1
	s_cmp_lg_u32 s4, 0
	s_waitcnt lgkmcnt(0)
	s_barrier
	s_cbranch_scc0 .LBB93_4
.LBB93_2:                               ; =>This Inner Loop Header: Depth=1
	s_waitcnt vmcnt(2)
	v_pk_mov_b32 v[0:1], v[6:7], v[6:7] op_sel:[0,1]
	v_pk_mov_b32 v[22:23], v[8:9], v[8:9] op_sel:[0,1]
	s_waitcnt vmcnt(1)
	v_pk_mov_b32 v[6:7], v[2:3], v[2:3] op_sel:[0,1]
	v_pk_mov_b32 v[8:9], v[4:5], v[4:5] op_sel:[0,1]
	;; [unrolled: 3-line block ×3, first 2 shown]
	ds_write2_b64 v20, v[0:1], v[22:23] offset1:1
	s_waitcnt lgkmcnt(0)
	s_barrier
	s_and_saveexec_b64 s[0:1], vcc
	s_cbranch_execz .LBB93_1
; %bb.3:                                ;   in Loop: Header=BB93_2 Depth=1
	ds_read2_b64 v[10:13], v20 offset0:2 offset1:3
	s_branch .LBB93_1
.LBB93_4:
	v_mov_b32_e32 v1, s3
	v_add_co_u32_e32 v0, vcc, s2, v14
	v_addc_co_u32_e32 v1, vcc, v1, v15, vcc
	global_store_dwordx4 v[0:1], v[6:9], off
	v_mov_b32_e32 v1, s3
	v_add_co_u32_e32 v0, vcc, s2, v16
	v_addc_co_u32_e32 v1, vcc, v1, v17, vcc
	global_store_dwordx4 v[0:1], v[2:5], off
	v_mov_b32_e32 v1, s3
	v_add_co_u32_e32 v0, vcc, s2, v18
	v_addc_co_u32_e32 v1, vcc, v1, v19, vcc
	global_store_dwordx4 v[0:1], v[10:13], off
	s_endpgm
	.section	.rodata,"a",@progbits
	.p2align	6, 0x0
	.amdhsa_kernel _Z6kernelI4downN15benchmark_utils11custom_typeIddEELj256ELj3ELj100EEvPKT0_PS4_
		.amdhsa_group_segment_fixed_size 4096
		.amdhsa_private_segment_fixed_size 0
		.amdhsa_kernarg_size 16
		.amdhsa_user_sgpr_count 6
		.amdhsa_user_sgpr_private_segment_buffer 1
		.amdhsa_user_sgpr_dispatch_ptr 0
		.amdhsa_user_sgpr_queue_ptr 0
		.amdhsa_user_sgpr_kernarg_segment_ptr 1
		.amdhsa_user_sgpr_dispatch_id 0
		.amdhsa_user_sgpr_flat_scratch_init 0
		.amdhsa_user_sgpr_kernarg_preload_length 0
		.amdhsa_user_sgpr_kernarg_preload_offset 0
		.amdhsa_user_sgpr_private_segment_size 0
		.amdhsa_uses_dynamic_stack 0
		.amdhsa_system_sgpr_private_segment_wavefront_offset 0
		.amdhsa_system_sgpr_workgroup_id_x 1
		.amdhsa_system_sgpr_workgroup_id_y 0
		.amdhsa_system_sgpr_workgroup_id_z 0
		.amdhsa_system_sgpr_workgroup_info 0
		.amdhsa_system_vgpr_workitem_id 0
		.amdhsa_next_free_vgpr 24
		.amdhsa_next_free_sgpr 7
		.amdhsa_accum_offset 24
		.amdhsa_reserve_vcc 1
		.amdhsa_reserve_flat_scratch 0
		.amdhsa_float_round_mode_32 0
		.amdhsa_float_round_mode_16_64 0
		.amdhsa_float_denorm_mode_32 3
		.amdhsa_float_denorm_mode_16_64 3
		.amdhsa_dx10_clamp 1
		.amdhsa_ieee_mode 1
		.amdhsa_fp16_overflow 0
		.amdhsa_tg_split 0
		.amdhsa_exception_fp_ieee_invalid_op 0
		.amdhsa_exception_fp_denorm_src 0
		.amdhsa_exception_fp_ieee_div_zero 0
		.amdhsa_exception_fp_ieee_overflow 0
		.amdhsa_exception_fp_ieee_underflow 0
		.amdhsa_exception_fp_ieee_inexact 0
		.amdhsa_exception_int_div_zero 0
	.end_amdhsa_kernel
	.section	.text._Z6kernelI4downN15benchmark_utils11custom_typeIddEELj256ELj3ELj100EEvPKT0_PS4_,"axG",@progbits,_Z6kernelI4downN15benchmark_utils11custom_typeIddEELj256ELj3ELj100EEvPKT0_PS4_,comdat
.Lfunc_end93:
	.size	_Z6kernelI4downN15benchmark_utils11custom_typeIddEELj256ELj3ELj100EEvPKT0_PS4_, .Lfunc_end93-_Z6kernelI4downN15benchmark_utils11custom_typeIddEELj256ELj3ELj100EEvPKT0_PS4_
                                        ; -- End function
	.section	.AMDGPU.csdata,"",@progbits
; Kernel info:
; codeLenInByte = 324
; NumSgprs: 11
; NumVgprs: 24
; NumAgprs: 0
; TotalNumVgprs: 24
; ScratchSize: 0
; MemoryBound: 0
; FloatMode: 240
; IeeeMode: 1
; LDSByteSize: 4096 bytes/workgroup (compile time only)
; SGPRBlocks: 1
; VGPRBlocks: 2
; NumSGPRsForWavesPerEU: 11
; NumVGPRsForWavesPerEU: 24
; AccumOffset: 24
; Occupancy: 8
; WaveLimiterHint : 0
; COMPUTE_PGM_RSRC2:SCRATCH_EN: 0
; COMPUTE_PGM_RSRC2:USER_SGPR: 6
; COMPUTE_PGM_RSRC2:TRAP_HANDLER: 0
; COMPUTE_PGM_RSRC2:TGID_X_EN: 1
; COMPUTE_PGM_RSRC2:TGID_Y_EN: 0
; COMPUTE_PGM_RSRC2:TGID_Z_EN: 0
; COMPUTE_PGM_RSRC2:TIDIG_COMP_CNT: 0
; COMPUTE_PGM_RSRC3_GFX90A:ACCUM_OFFSET: 5
; COMPUTE_PGM_RSRC3_GFX90A:TG_SPLIT: 0
	.section	.text._Z6kernelI4downN15benchmark_utils11custom_typeIddEELj256ELj4ELj100EEvPKT0_PS4_,"axG",@progbits,_Z6kernelI4downN15benchmark_utils11custom_typeIddEELj256ELj4ELj100EEvPKT0_PS4_,comdat
	.protected	_Z6kernelI4downN15benchmark_utils11custom_typeIddEELj256ELj4ELj100EEvPKT0_PS4_ ; -- Begin function _Z6kernelI4downN15benchmark_utils11custom_typeIddEELj256ELj4ELj100EEvPKT0_PS4_
	.globl	_Z6kernelI4downN15benchmark_utils11custom_typeIddEELj256ELj4ELj100EEvPKT0_PS4_
	.p2align	8
	.type	_Z6kernelI4downN15benchmark_utils11custom_typeIddEELj256ELj4ELj100EEvPKT0_PS4_,@function
_Z6kernelI4downN15benchmark_utils11custom_typeIddEELj256ELj4ELj100EEvPKT0_PS4_: ; @_Z6kernelI4downN15benchmark_utils11custom_typeIddEELj256ELj4ELj100EEvPKT0_PS4_
; %bb.0:
	s_load_dwordx4 s[0:3], s[4:5], 0x0
	v_lshlrev_b32_e32 v1, 2, v0
	v_lshl_or_b32 v2, s6, 10, v1
	v_mov_b32_e32 v3, 0
	v_lshlrev_b64 v[18:19], 4, v[2:3]
	s_waitcnt lgkmcnt(0)
	v_mov_b32_e32 v1, s1
	v_add_co_u32_e32 v20, vcc, s0, v18
	v_addc_co_u32_e32 v21, vcc, v1, v19, vcc
	global_load_dwordx4 v[6:9], v[20:21], off offset:16
	global_load_dwordx4 v[14:17], v[20:21], off
	global_load_dwordx4 v[10:13], v[20:21], off offset:48
	global_load_dwordx4 v[2:5], v[20:21], off offset:32
	s_movk_i32 s0, 0xff
	v_lshlrev_b32_e32 v20, 4, v0
	v_cmp_gt_u32_e32 vcc, s0, v0
	s_movk_i32 s4, 0x64
	s_branch .LBB94_2
.LBB94_1:                               ;   in Loop: Header=BB94_2 Depth=1
	s_or_b64 exec, exec, s[0:1]
	s_add_i32 s4, s4, -1
	s_cmp_lg_u32 s4, 0
	s_waitcnt lgkmcnt(0)
	s_barrier
	s_cbranch_scc0 .LBB94_4
.LBB94_2:                               ; =>This Inner Loop Header: Depth=1
	s_waitcnt vmcnt(2)
	v_pk_mov_b32 v[0:1], v[14:15], v[14:15] op_sel:[0,1]
	v_pk_mov_b32 v[22:23], v[16:17], v[16:17] op_sel:[0,1]
	;; [unrolled: 1-line block ×4, first 2 shown]
	s_waitcnt vmcnt(0)
	v_pk_mov_b32 v[6:7], v[2:3], v[2:3] op_sel:[0,1]
	v_pk_mov_b32 v[8:9], v[4:5], v[4:5] op_sel:[0,1]
	;; [unrolled: 1-line block ×4, first 2 shown]
	ds_write2_b64 v20, v[0:1], v[22:23] offset1:1
	s_waitcnt lgkmcnt(0)
	s_barrier
	s_and_saveexec_b64 s[0:1], vcc
	s_cbranch_execz .LBB94_1
; %bb.3:                                ;   in Loop: Header=BB94_2 Depth=1
	ds_read2_b64 v[10:13], v20 offset0:2 offset1:3
	s_branch .LBB94_1
.LBB94_4:
	v_mov_b32_e32 v1, s3
	v_add_co_u32_e32 v0, vcc, s2, v18
	v_addc_co_u32_e32 v1, vcc, v1, v19, vcc
	global_store_dwordx4 v[0:1], v[14:17], off
	global_store_dwordx4 v[0:1], v[6:9], off offset:16
	global_store_dwordx4 v[0:1], v[2:5], off offset:32
	global_store_dwordx4 v[0:1], v[10:13], off offset:48
	s_endpgm
	.section	.rodata,"a",@progbits
	.p2align	6, 0x0
	.amdhsa_kernel _Z6kernelI4downN15benchmark_utils11custom_typeIddEELj256ELj4ELj100EEvPKT0_PS4_
		.amdhsa_group_segment_fixed_size 4096
		.amdhsa_private_segment_fixed_size 0
		.amdhsa_kernarg_size 16
		.amdhsa_user_sgpr_count 6
		.amdhsa_user_sgpr_private_segment_buffer 1
		.amdhsa_user_sgpr_dispatch_ptr 0
		.amdhsa_user_sgpr_queue_ptr 0
		.amdhsa_user_sgpr_kernarg_segment_ptr 1
		.amdhsa_user_sgpr_dispatch_id 0
		.amdhsa_user_sgpr_flat_scratch_init 0
		.amdhsa_user_sgpr_kernarg_preload_length 0
		.amdhsa_user_sgpr_kernarg_preload_offset 0
		.amdhsa_user_sgpr_private_segment_size 0
		.amdhsa_uses_dynamic_stack 0
		.amdhsa_system_sgpr_private_segment_wavefront_offset 0
		.amdhsa_system_sgpr_workgroup_id_x 1
		.amdhsa_system_sgpr_workgroup_id_y 0
		.amdhsa_system_sgpr_workgroup_id_z 0
		.amdhsa_system_sgpr_workgroup_info 0
		.amdhsa_system_vgpr_workitem_id 0
		.amdhsa_next_free_vgpr 24
		.amdhsa_next_free_sgpr 7
		.amdhsa_accum_offset 24
		.amdhsa_reserve_vcc 1
		.amdhsa_reserve_flat_scratch 0
		.amdhsa_float_round_mode_32 0
		.amdhsa_float_round_mode_16_64 0
		.amdhsa_float_denorm_mode_32 3
		.amdhsa_float_denorm_mode_16_64 3
		.amdhsa_dx10_clamp 1
		.amdhsa_ieee_mode 1
		.amdhsa_fp16_overflow 0
		.amdhsa_tg_split 0
		.amdhsa_exception_fp_ieee_invalid_op 0
		.amdhsa_exception_fp_denorm_src 0
		.amdhsa_exception_fp_ieee_div_zero 0
		.amdhsa_exception_fp_ieee_overflow 0
		.amdhsa_exception_fp_ieee_underflow 0
		.amdhsa_exception_fp_ieee_inexact 0
		.amdhsa_exception_int_div_zero 0
	.end_amdhsa_kernel
	.section	.text._Z6kernelI4downN15benchmark_utils11custom_typeIddEELj256ELj4ELj100EEvPKT0_PS4_,"axG",@progbits,_Z6kernelI4downN15benchmark_utils11custom_typeIddEELj256ELj4ELj100EEvPKT0_PS4_,comdat
.Lfunc_end94:
	.size	_Z6kernelI4downN15benchmark_utils11custom_typeIddEELj256ELj4ELj100EEvPKT0_PS4_, .Lfunc_end94-_Z6kernelI4downN15benchmark_utils11custom_typeIddEELj256ELj4ELj100EEvPKT0_PS4_
                                        ; -- End function
	.section	.AMDGPU.csdata,"",@progbits
; Kernel info:
; codeLenInByte = 280
; NumSgprs: 11
; NumVgprs: 24
; NumAgprs: 0
; TotalNumVgprs: 24
; ScratchSize: 0
; MemoryBound: 1
; FloatMode: 240
; IeeeMode: 1
; LDSByteSize: 4096 bytes/workgroup (compile time only)
; SGPRBlocks: 1
; VGPRBlocks: 2
; NumSGPRsForWavesPerEU: 11
; NumVGPRsForWavesPerEU: 24
; AccumOffset: 24
; Occupancy: 8
; WaveLimiterHint : 0
; COMPUTE_PGM_RSRC2:SCRATCH_EN: 0
; COMPUTE_PGM_RSRC2:USER_SGPR: 6
; COMPUTE_PGM_RSRC2:TRAP_HANDLER: 0
; COMPUTE_PGM_RSRC2:TGID_X_EN: 1
; COMPUTE_PGM_RSRC2:TGID_Y_EN: 0
; COMPUTE_PGM_RSRC2:TGID_Z_EN: 0
; COMPUTE_PGM_RSRC2:TIDIG_COMP_CNT: 0
; COMPUTE_PGM_RSRC3_GFX90A:ACCUM_OFFSET: 5
; COMPUTE_PGM_RSRC3_GFX90A:TG_SPLIT: 0
	.section	.text._Z6kernelI4downN15benchmark_utils11custom_typeIddEELj256ELj8ELj100EEvPKT0_PS4_,"axG",@progbits,_Z6kernelI4downN15benchmark_utils11custom_typeIddEELj256ELj8ELj100EEvPKT0_PS4_,comdat
	.protected	_Z6kernelI4downN15benchmark_utils11custom_typeIddEELj256ELj8ELj100EEvPKT0_PS4_ ; -- Begin function _Z6kernelI4downN15benchmark_utils11custom_typeIddEELj256ELj8ELj100EEvPKT0_PS4_
	.globl	_Z6kernelI4downN15benchmark_utils11custom_typeIddEELj256ELj8ELj100EEvPKT0_PS4_
	.p2align	8
	.type	_Z6kernelI4downN15benchmark_utils11custom_typeIddEELj256ELj8ELj100EEvPKT0_PS4_,@function
_Z6kernelI4downN15benchmark_utils11custom_typeIddEELj256ELj8ELj100EEvPKT0_PS4_: ; @_Z6kernelI4downN15benchmark_utils11custom_typeIddEELj256ELj8ELj100EEvPKT0_PS4_
; %bb.0:
	s_load_dwordx4 s[0:3], s[4:5], 0x0
	v_lshlrev_b32_e32 v1, 3, v0
	v_lshl_or_b32 v2, s6, 11, v1
	v_mov_b32_e32 v3, 0
	v_lshlrev_b64 v[34:35], 4, v[2:3]
	s_waitcnt lgkmcnt(0)
	v_mov_b32_e32 v1, s1
	v_add_co_u32_e32 v36, vcc, s0, v34
	v_addc_co_u32_e32 v37, vcc, v1, v35, vcc
	global_load_dwordx4 v[2:5], v[36:37], off offset:48
	global_load_dwordx4 v[6:9], v[36:37], off offset:32
	;; [unrolled: 1-line block ×3, first 2 shown]
	global_load_dwordx4 v[26:29], v[36:37], off
	global_load_dwordx4 v[14:17], v[36:37], off offset:112
	global_load_dwordx4 v[10:13], v[36:37], off offset:96
	;; [unrolled: 1-line block ×4, first 2 shown]
	s_movk_i32 s0, 0xff
	v_lshlrev_b32_e32 v36, 4, v0
	v_cmp_gt_u32_e32 vcc, s0, v0
	s_movk_i32 s4, 0x64
	s_branch .LBB95_2
.LBB95_1:                               ;   in Loop: Header=BB95_2 Depth=1
	s_or_b64 exec, exec, s[0:1]
	s_add_i32 s4, s4, -1
	s_cmp_lg_u32 s4, 0
	s_waitcnt lgkmcnt(0)
	s_barrier
	s_cbranch_scc0 .LBB95_4
.LBB95_2:                               ; =>This Inner Loop Header: Depth=1
	s_waitcnt vmcnt(4)
	v_pk_mov_b32 v[0:1], v[26:27], v[26:27] op_sel:[0,1]
	v_pk_mov_b32 v[38:39], v[28:29], v[28:29] op_sel:[0,1]
	;; [unrolled: 1-line block ×8, first 2 shown]
	s_waitcnt vmcnt(0)
	v_pk_mov_b32 v[2:3], v[30:31], v[30:31] op_sel:[0,1]
	v_pk_mov_b32 v[4:5], v[32:33], v[32:33] op_sel:[0,1]
	;; [unrolled: 1-line block ×8, first 2 shown]
	ds_write2_b64 v36, v[0:1], v[38:39] offset1:1
	s_waitcnt lgkmcnt(0)
	s_barrier
	s_and_saveexec_b64 s[0:1], vcc
	s_cbranch_execz .LBB95_1
; %bb.3:                                ;   in Loop: Header=BB95_2 Depth=1
	ds_read2_b64 v[14:17], v36 offset0:2 offset1:3
	s_branch .LBB95_1
.LBB95_4:
	v_mov_b32_e32 v1, s3
	v_add_co_u32_e32 v0, vcc, s2, v34
	v_addc_co_u32_e32 v1, vcc, v1, v35, vcc
	global_store_dwordx4 v[0:1], v[26:29], off
	global_store_dwordx4 v[0:1], v[18:21], off offset:16
	global_store_dwordx4 v[0:1], v[6:9], off offset:32
	;; [unrolled: 1-line block ×7, first 2 shown]
	s_endpgm
	.section	.rodata,"a",@progbits
	.p2align	6, 0x0
	.amdhsa_kernel _Z6kernelI4downN15benchmark_utils11custom_typeIddEELj256ELj8ELj100EEvPKT0_PS4_
		.amdhsa_group_segment_fixed_size 4096
		.amdhsa_private_segment_fixed_size 0
		.amdhsa_kernarg_size 16
		.amdhsa_user_sgpr_count 6
		.amdhsa_user_sgpr_private_segment_buffer 1
		.amdhsa_user_sgpr_dispatch_ptr 0
		.amdhsa_user_sgpr_queue_ptr 0
		.amdhsa_user_sgpr_kernarg_segment_ptr 1
		.amdhsa_user_sgpr_dispatch_id 0
		.amdhsa_user_sgpr_flat_scratch_init 0
		.amdhsa_user_sgpr_kernarg_preload_length 0
		.amdhsa_user_sgpr_kernarg_preload_offset 0
		.amdhsa_user_sgpr_private_segment_size 0
		.amdhsa_uses_dynamic_stack 0
		.amdhsa_system_sgpr_private_segment_wavefront_offset 0
		.amdhsa_system_sgpr_workgroup_id_x 1
		.amdhsa_system_sgpr_workgroup_id_y 0
		.amdhsa_system_sgpr_workgroup_id_z 0
		.amdhsa_system_sgpr_workgroup_info 0
		.amdhsa_system_vgpr_workitem_id 0
		.amdhsa_next_free_vgpr 40
		.amdhsa_next_free_sgpr 7
		.amdhsa_accum_offset 40
		.amdhsa_reserve_vcc 1
		.amdhsa_reserve_flat_scratch 0
		.amdhsa_float_round_mode_32 0
		.amdhsa_float_round_mode_16_64 0
		.amdhsa_float_denorm_mode_32 3
		.amdhsa_float_denorm_mode_16_64 3
		.amdhsa_dx10_clamp 1
		.amdhsa_ieee_mode 1
		.amdhsa_fp16_overflow 0
		.amdhsa_tg_split 0
		.amdhsa_exception_fp_ieee_invalid_op 0
		.amdhsa_exception_fp_denorm_src 0
		.amdhsa_exception_fp_ieee_div_zero 0
		.amdhsa_exception_fp_ieee_overflow 0
		.amdhsa_exception_fp_ieee_underflow 0
		.amdhsa_exception_fp_ieee_inexact 0
		.amdhsa_exception_int_div_zero 0
	.end_amdhsa_kernel
	.section	.text._Z6kernelI4downN15benchmark_utils11custom_typeIddEELj256ELj8ELj100EEvPKT0_PS4_,"axG",@progbits,_Z6kernelI4downN15benchmark_utils11custom_typeIddEELj256ELj8ELj100EEvPKT0_PS4_,comdat
.Lfunc_end95:
	.size	_Z6kernelI4downN15benchmark_utils11custom_typeIddEELj256ELj8ELj100EEvPKT0_PS4_, .Lfunc_end95-_Z6kernelI4downN15benchmark_utils11custom_typeIddEELj256ELj8ELj100EEvPKT0_PS4_
                                        ; -- End function
	.section	.AMDGPU.csdata,"",@progbits
; Kernel info:
; codeLenInByte = 408
; NumSgprs: 11
; NumVgprs: 40
; NumAgprs: 0
; TotalNumVgprs: 40
; ScratchSize: 0
; MemoryBound: 1
; FloatMode: 240
; IeeeMode: 1
; LDSByteSize: 4096 bytes/workgroup (compile time only)
; SGPRBlocks: 1
; VGPRBlocks: 4
; NumSGPRsForWavesPerEU: 11
; NumVGPRsForWavesPerEU: 40
; AccumOffset: 40
; Occupancy: 8
; WaveLimiterHint : 0
; COMPUTE_PGM_RSRC2:SCRATCH_EN: 0
; COMPUTE_PGM_RSRC2:USER_SGPR: 6
; COMPUTE_PGM_RSRC2:TRAP_HANDLER: 0
; COMPUTE_PGM_RSRC2:TGID_X_EN: 1
; COMPUTE_PGM_RSRC2:TGID_Y_EN: 0
; COMPUTE_PGM_RSRC2:TGID_Z_EN: 0
; COMPUTE_PGM_RSRC2:TIDIG_COMP_CNT: 0
; COMPUTE_PGM_RSRC3_GFX90A:ACCUM_OFFSET: 9
; COMPUTE_PGM_RSRC3_GFX90A:TG_SPLIT: 0
	.section	.text._Z6kernelI4downN15benchmark_utils11custom_typeIddEELj256ELj16ELj100EEvPKT0_PS4_,"axG",@progbits,_Z6kernelI4downN15benchmark_utils11custom_typeIddEELj256ELj16ELj100EEvPKT0_PS4_,comdat
	.protected	_Z6kernelI4downN15benchmark_utils11custom_typeIddEELj256ELj16ELj100EEvPKT0_PS4_ ; -- Begin function _Z6kernelI4downN15benchmark_utils11custom_typeIddEELj256ELj16ELj100EEvPKT0_PS4_
	.globl	_Z6kernelI4downN15benchmark_utils11custom_typeIddEELj256ELj16ELj100EEvPKT0_PS4_
	.p2align	8
	.type	_Z6kernelI4downN15benchmark_utils11custom_typeIddEELj256ELj16ELj100EEvPKT0_PS4_,@function
_Z6kernelI4downN15benchmark_utils11custom_typeIddEELj256ELj16ELj100EEvPKT0_PS4_: ; @_Z6kernelI4downN15benchmark_utils11custom_typeIddEELj256ELj16ELj100EEvPKT0_PS4_
; %bb.0:
	s_load_dwordx4 s[0:3], s[4:5], 0x0
	v_lshlrev_b32_e32 v68, 4, v0
	v_lshl_or_b32 v2, s6, 12, v68
	v_mov_b32_e32 v3, 0
	v_lshlrev_b64 v[66:67], 4, v[2:3]
	s_waitcnt lgkmcnt(0)
	v_mov_b32_e32 v1, s1
	v_add_co_u32_e32 v62, vcc, s0, v66
	v_addc_co_u32_e32 v63, vcc, v1, v67, vcc
	global_load_dwordx4 v[2:5], v[62:63], off offset:48
	global_load_dwordx4 v[10:13], v[62:63], off offset:32
	;; [unrolled: 1-line block ×3, first 2 shown]
	global_load_dwordx4 v[42:45], v[62:63], off
	global_load_dwordx4 v[6:9], v[62:63], off offset:112
	global_load_dwordx4 v[18:21], v[62:63], off offset:96
	;; [unrolled: 1-line block ×11, first 2 shown]
	s_nop 0
	global_load_dwordx4 v[62:65], v[62:63], off offset:192
	s_movk_i32 s0, 0xff
	v_cmp_gt_u32_e32 vcc, s0, v0
	s_movk_i32 s4, 0x64
	s_branch .LBB96_2
.LBB96_1:                               ;   in Loop: Header=BB96_2 Depth=1
	s_or_b64 exec, exec, s[0:1]
	s_add_i32 s4, s4, -1
	s_cmp_lg_u32 s4, 0
	s_waitcnt lgkmcnt(0)
	s_barrier
	s_cbranch_scc0 .LBB96_4
.LBB96_2:                               ; =>This Inner Loop Header: Depth=1
	s_waitcnt vmcnt(12)
	v_pk_mov_b32 v[0:1], v[42:43], v[42:43] op_sel:[0,1]
	v_pk_mov_b32 v[70:71], v[44:45], v[44:45] op_sel:[0,1]
	v_pk_mov_b32 v[42:43], v[22:23], v[22:23] op_sel:[0,1]
	v_pk_mov_b32 v[44:45], v[24:25], v[24:25] op_sel:[0,1]
	v_pk_mov_b32 v[22:23], v[10:11], v[10:11] op_sel:[0,1]
	v_pk_mov_b32 v[24:25], v[12:13], v[12:13] op_sel:[0,1]
	v_pk_mov_b32 v[10:11], v[2:3], v[2:3] op_sel:[0,1]
	v_pk_mov_b32 v[12:13], v[4:5], v[4:5] op_sel:[0,1]
	s_waitcnt vmcnt(8)
	v_pk_mov_b32 v[2:3], v[50:51], v[50:51] op_sel:[0,1]
	v_pk_mov_b32 v[4:5], v[52:53], v[52:53] op_sel:[0,1]
	v_pk_mov_b32 v[50:51], v[30:31], v[30:31] op_sel:[0,1]
	v_pk_mov_b32 v[52:53], v[32:33], v[32:33] op_sel:[0,1]
	v_pk_mov_b32 v[30:31], v[18:19], v[18:19] op_sel:[0,1]
	v_pk_mov_b32 v[32:33], v[20:21], v[20:21] op_sel:[0,1]
	v_pk_mov_b32 v[18:19], v[6:7], v[6:7] op_sel:[0,1]
	v_pk_mov_b32 v[20:21], v[8:9], v[8:9] op_sel:[0,1]
	;; [unrolled: 9-line block ×4, first 2 shown]
	ds_write2_b64 v68, v[0:1], v[70:71] offset1:1
	s_waitcnt lgkmcnt(0)
	s_barrier
	s_and_saveexec_b64 s[0:1], vcc
	s_cbranch_execz .LBB96_1
; %bb.3:                                ;   in Loop: Header=BB96_2 Depth=1
	ds_read2_b64 v[38:41], v68 offset0:2 offset1:3
	s_branch .LBB96_1
.LBB96_4:
	v_mov_b32_e32 v1, s3
	v_add_co_u32_e32 v0, vcc, s2, v66
	v_addc_co_u32_e32 v1, vcc, v1, v67, vcc
	global_store_dwordx4 v[0:1], v[42:45], off
	global_store_dwordx4 v[0:1], v[22:25], off offset:16
	global_store_dwordx4 v[0:1], v[10:13], off offset:32
	;; [unrolled: 1-line block ×15, first 2 shown]
	s_endpgm
	.section	.rodata,"a",@progbits
	.p2align	6, 0x0
	.amdhsa_kernel _Z6kernelI4downN15benchmark_utils11custom_typeIddEELj256ELj16ELj100EEvPKT0_PS4_
		.amdhsa_group_segment_fixed_size 4096
		.amdhsa_private_segment_fixed_size 0
		.amdhsa_kernarg_size 16
		.amdhsa_user_sgpr_count 6
		.amdhsa_user_sgpr_private_segment_buffer 1
		.amdhsa_user_sgpr_dispatch_ptr 0
		.amdhsa_user_sgpr_queue_ptr 0
		.amdhsa_user_sgpr_kernarg_segment_ptr 1
		.amdhsa_user_sgpr_dispatch_id 0
		.amdhsa_user_sgpr_flat_scratch_init 0
		.amdhsa_user_sgpr_kernarg_preload_length 0
		.amdhsa_user_sgpr_kernarg_preload_offset 0
		.amdhsa_user_sgpr_private_segment_size 0
		.amdhsa_uses_dynamic_stack 0
		.amdhsa_system_sgpr_private_segment_wavefront_offset 0
		.amdhsa_system_sgpr_workgroup_id_x 1
		.amdhsa_system_sgpr_workgroup_id_y 0
		.amdhsa_system_sgpr_workgroup_id_z 0
		.amdhsa_system_sgpr_workgroup_info 0
		.amdhsa_system_vgpr_workitem_id 0
		.amdhsa_next_free_vgpr 72
		.amdhsa_next_free_sgpr 7
		.amdhsa_accum_offset 72
		.amdhsa_reserve_vcc 1
		.amdhsa_reserve_flat_scratch 0
		.amdhsa_float_round_mode_32 0
		.amdhsa_float_round_mode_16_64 0
		.amdhsa_float_denorm_mode_32 3
		.amdhsa_float_denorm_mode_16_64 3
		.amdhsa_dx10_clamp 1
		.amdhsa_ieee_mode 1
		.amdhsa_fp16_overflow 0
		.amdhsa_tg_split 0
		.amdhsa_exception_fp_ieee_invalid_op 0
		.amdhsa_exception_fp_denorm_src 0
		.amdhsa_exception_fp_ieee_div_zero 0
		.amdhsa_exception_fp_ieee_overflow 0
		.amdhsa_exception_fp_ieee_underflow 0
		.amdhsa_exception_fp_ieee_inexact 0
		.amdhsa_exception_int_div_zero 0
	.end_amdhsa_kernel
	.section	.text._Z6kernelI4downN15benchmark_utils11custom_typeIddEELj256ELj16ELj100EEvPKT0_PS4_,"axG",@progbits,_Z6kernelI4downN15benchmark_utils11custom_typeIddEELj256ELj16ELj100EEvPKT0_PS4_,comdat
.Lfunc_end96:
	.size	_Z6kernelI4downN15benchmark_utils11custom_typeIddEELj256ELj16ELj100EEvPKT0_PS4_, .Lfunc_end96-_Z6kernelI4downN15benchmark_utils11custom_typeIddEELj256ELj16ELj100EEvPKT0_PS4_
                                        ; -- End function
	.section	.AMDGPU.csdata,"",@progbits
; Kernel info:
; codeLenInByte = 672
; NumSgprs: 11
; NumVgprs: 72
; NumAgprs: 0
; TotalNumVgprs: 72
; ScratchSize: 0
; MemoryBound: 1
; FloatMode: 240
; IeeeMode: 1
; LDSByteSize: 4096 bytes/workgroup (compile time only)
; SGPRBlocks: 1
; VGPRBlocks: 8
; NumSGPRsForWavesPerEU: 11
; NumVGPRsForWavesPerEU: 72
; AccumOffset: 72
; Occupancy: 7
; WaveLimiterHint : 0
; COMPUTE_PGM_RSRC2:SCRATCH_EN: 0
; COMPUTE_PGM_RSRC2:USER_SGPR: 6
; COMPUTE_PGM_RSRC2:TRAP_HANDLER: 0
; COMPUTE_PGM_RSRC2:TGID_X_EN: 1
; COMPUTE_PGM_RSRC2:TGID_Y_EN: 0
; COMPUTE_PGM_RSRC2:TGID_Z_EN: 0
; COMPUTE_PGM_RSRC2:TIDIG_COMP_CNT: 0
; COMPUTE_PGM_RSRC3_GFX90A:ACCUM_OFFSET: 17
; COMPUTE_PGM_RSRC3_GFX90A:TG_SPLIT: 0
	.section	.text._Z6kernelI4downN15benchmark_utils11custom_typeIddEELj256ELj32ELj100EEvPKT0_PS4_,"axG",@progbits,_Z6kernelI4downN15benchmark_utils11custom_typeIddEELj256ELj32ELj100EEvPKT0_PS4_,comdat
	.protected	_Z6kernelI4downN15benchmark_utils11custom_typeIddEELj256ELj32ELj100EEvPKT0_PS4_ ; -- Begin function _Z6kernelI4downN15benchmark_utils11custom_typeIddEELj256ELj32ELj100EEvPKT0_PS4_
	.globl	_Z6kernelI4downN15benchmark_utils11custom_typeIddEELj256ELj32ELj100EEvPKT0_PS4_
	.p2align	8
	.type	_Z6kernelI4downN15benchmark_utils11custom_typeIddEELj256ELj32ELj100EEvPKT0_PS4_,@function
_Z6kernelI4downN15benchmark_utils11custom_typeIddEELj256ELj32ELj100EEvPKT0_PS4_: ; @_Z6kernelI4downN15benchmark_utils11custom_typeIddEELj256ELj32ELj100EEvPKT0_PS4_
; %bb.0:
	s_load_dwordx4 s[0:3], s[4:5], 0x0
	v_lshlrev_b32_e32 v1, 5, v0
	v_lshl_or_b32 v2, s6, 13, v1
	v_mov_b32_e32 v3, 0
	v_lshlrev_b64 v[130:131], 4, v[2:3]
	s_waitcnt lgkmcnt(0)
	v_mov_b32_e32 v1, s1
	v_add_co_u32_e32 v126, vcc, s0, v130
	v_addc_co_u32_e32 v127, vcc, v1, v131, vcc
	global_load_dwordx4 v[2:5], v[126:127], off offset:48
	global_load_dwordx4 v[10:13], v[126:127], off offset:32
	;; [unrolled: 1-line block ×3, first 2 shown]
	global_load_dwordx4 v[50:53], v[126:127], off
	global_load_dwordx4 v[6:9], v[126:127], off offset:112
	global_load_dwordx4 v[18:21], v[126:127], off offset:96
	;; [unrolled: 1-line block ×27, first 2 shown]
	s_nop 0
	global_load_dwordx4 v[126:129], v[126:127], off offset:448
	s_movk_i32 s0, 0xff
	v_lshlrev_b32_e32 v132, 4, v0
	v_cmp_gt_u32_e32 vcc, s0, v0
	s_movk_i32 s4, 0x64
	s_branch .LBB97_2
.LBB97_1:                               ;   in Loop: Header=BB97_2 Depth=1
	s_or_b64 exec, exec, s[0:1]
	s_add_i32 s4, s4, -1
	s_cmp_lg_u32 s4, 0
	s_waitcnt lgkmcnt(0)
	s_barrier
	s_cbranch_scc0 .LBB97_4
.LBB97_2:                               ; =>This Inner Loop Header: Depth=1
	s_waitcnt vmcnt(28)
	v_pk_mov_b32 v[0:1], v[50:51], v[50:51] op_sel:[0,1]
	v_pk_mov_b32 v[134:135], v[52:53], v[52:53] op_sel:[0,1]
	v_pk_mov_b32 v[50:51], v[26:27], v[26:27] op_sel:[0,1]
	v_pk_mov_b32 v[52:53], v[28:29], v[28:29] op_sel:[0,1]
	v_pk_mov_b32 v[26:27], v[10:11], v[10:11] op_sel:[0,1]
	v_pk_mov_b32 v[28:29], v[12:13], v[12:13] op_sel:[0,1]
	v_pk_mov_b32 v[10:11], v[2:3], v[2:3] op_sel:[0,1]
	v_pk_mov_b32 v[12:13], v[4:5], v[4:5] op_sel:[0,1]
	s_waitcnt vmcnt(24)
	v_pk_mov_b32 v[2:3], v[66:67], v[66:67] op_sel:[0,1]
	v_pk_mov_b32 v[4:5], v[68:69], v[68:69] op_sel:[0,1]
	v_pk_mov_b32 v[66:67], v[38:39], v[38:39] op_sel:[0,1]
	v_pk_mov_b32 v[68:69], v[40:41], v[40:41] op_sel:[0,1]
	v_pk_mov_b32 v[38:39], v[18:19], v[18:19] op_sel:[0,1]
	v_pk_mov_b32 v[40:41], v[20:21], v[20:21] op_sel:[0,1]
	v_pk_mov_b32 v[18:19], v[6:7], v[6:7] op_sel:[0,1]
	v_pk_mov_b32 v[20:21], v[8:9], v[8:9] op_sel:[0,1]
	;; [unrolled: 9-line block ×8, first 2 shown]
	ds_write2_b64 v132, v[0:1], v[134:135] offset1:1
	s_waitcnt lgkmcnt(0)
	s_barrier
	s_and_saveexec_b64 s[0:1], vcc
	s_cbranch_execz .LBB97_1
; %bb.3:                                ;   in Loop: Header=BB97_2 Depth=1
	ds_read2_b64 v[102:105], v132 offset0:2 offset1:3
	s_branch .LBB97_1
.LBB97_4:
	v_mov_b32_e32 v1, s3
	v_add_co_u32_e32 v0, vcc, s2, v130
	v_addc_co_u32_e32 v1, vcc, v1, v131, vcc
	global_store_dwordx4 v[0:1], v[50:53], off
	global_store_dwordx4 v[0:1], v[26:29], off offset:16
	global_store_dwordx4 v[0:1], v[10:13], off offset:32
	;; [unrolled: 1-line block ×31, first 2 shown]
	s_endpgm
	.section	.rodata,"a",@progbits
	.p2align	6, 0x0
	.amdhsa_kernel _Z6kernelI4downN15benchmark_utils11custom_typeIddEELj256ELj32ELj100EEvPKT0_PS4_
		.amdhsa_group_segment_fixed_size 4096
		.amdhsa_private_segment_fixed_size 0
		.amdhsa_kernarg_size 16
		.amdhsa_user_sgpr_count 6
		.amdhsa_user_sgpr_private_segment_buffer 1
		.amdhsa_user_sgpr_dispatch_ptr 0
		.amdhsa_user_sgpr_queue_ptr 0
		.amdhsa_user_sgpr_kernarg_segment_ptr 1
		.amdhsa_user_sgpr_dispatch_id 0
		.amdhsa_user_sgpr_flat_scratch_init 0
		.amdhsa_user_sgpr_kernarg_preload_length 0
		.amdhsa_user_sgpr_kernarg_preload_offset 0
		.amdhsa_user_sgpr_private_segment_size 0
		.amdhsa_uses_dynamic_stack 0
		.amdhsa_system_sgpr_private_segment_wavefront_offset 0
		.amdhsa_system_sgpr_workgroup_id_x 1
		.amdhsa_system_sgpr_workgroup_id_y 0
		.amdhsa_system_sgpr_workgroup_id_z 0
		.amdhsa_system_sgpr_workgroup_info 0
		.amdhsa_system_vgpr_workitem_id 0
		.amdhsa_next_free_vgpr 136
		.amdhsa_next_free_sgpr 7
		.amdhsa_accum_offset 136
		.amdhsa_reserve_vcc 1
		.amdhsa_reserve_flat_scratch 0
		.amdhsa_float_round_mode_32 0
		.amdhsa_float_round_mode_16_64 0
		.amdhsa_float_denorm_mode_32 3
		.amdhsa_float_denorm_mode_16_64 3
		.amdhsa_dx10_clamp 1
		.amdhsa_ieee_mode 1
		.amdhsa_fp16_overflow 0
		.amdhsa_tg_split 0
		.amdhsa_exception_fp_ieee_invalid_op 0
		.amdhsa_exception_fp_denorm_src 0
		.amdhsa_exception_fp_ieee_div_zero 0
		.amdhsa_exception_fp_ieee_overflow 0
		.amdhsa_exception_fp_ieee_underflow 0
		.amdhsa_exception_fp_ieee_inexact 0
		.amdhsa_exception_int_div_zero 0
	.end_amdhsa_kernel
	.section	.text._Z6kernelI4downN15benchmark_utils11custom_typeIddEELj256ELj32ELj100EEvPKT0_PS4_,"axG",@progbits,_Z6kernelI4downN15benchmark_utils11custom_typeIddEELj256ELj32ELj100EEvPKT0_PS4_,comdat
.Lfunc_end97:
	.size	_Z6kernelI4downN15benchmark_utils11custom_typeIddEELj256ELj32ELj100EEvPKT0_PS4_, .Lfunc_end97-_Z6kernelI4downN15benchmark_utils11custom_typeIddEELj256ELj32ELj100EEvPKT0_PS4_
                                        ; -- End function
	.section	.AMDGPU.csdata,"",@progbits
; Kernel info:
; codeLenInByte = 1204
; NumSgprs: 11
; NumVgprs: 136
; NumAgprs: 0
; TotalNumVgprs: 136
; ScratchSize: 0
; MemoryBound: 1
; FloatMode: 240
; IeeeMode: 1
; LDSByteSize: 4096 bytes/workgroup (compile time only)
; SGPRBlocks: 1
; VGPRBlocks: 16
; NumSGPRsForWavesPerEU: 11
; NumVGPRsForWavesPerEU: 136
; AccumOffset: 136
; Occupancy: 3
; WaveLimiterHint : 0
; COMPUTE_PGM_RSRC2:SCRATCH_EN: 0
; COMPUTE_PGM_RSRC2:USER_SGPR: 6
; COMPUTE_PGM_RSRC2:TRAP_HANDLER: 0
; COMPUTE_PGM_RSRC2:TGID_X_EN: 1
; COMPUTE_PGM_RSRC2:TGID_Y_EN: 0
; COMPUTE_PGM_RSRC2:TGID_Z_EN: 0
; COMPUTE_PGM_RSRC2:TIDIG_COMP_CNT: 0
; COMPUTE_PGM_RSRC3_GFX90A:ACCUM_OFFSET: 33
; COMPUTE_PGM_RSRC3_GFX90A:TG_SPLIT: 0
	.text
	.p2alignl 6, 3212836864
	.fill 256, 4, 3212836864
	.type	__hip_cuid_5db31f412d5833d3,@object ; @__hip_cuid_5db31f412d5833d3
	.section	.bss,"aw",@nobits
	.globl	__hip_cuid_5db31f412d5833d3
__hip_cuid_5db31f412d5833d3:
	.byte	0                               ; 0x0
	.size	__hip_cuid_5db31f412d5833d3, 1

	.ident	"AMD clang version 19.0.0git (https://github.com/RadeonOpenCompute/llvm-project roc-6.4.0 25133 c7fe45cf4b819c5991fe208aaa96edf142730f1d)"
	.section	".note.GNU-stack","",@progbits
	.addrsig
	.addrsig_sym __hip_cuid_5db31f412d5833d3
	.amdgpu_metadata
---
amdhsa.kernels:
  - .agpr_count:     0
    .args:
      - .address_space:  global
        .offset:         0
        .size:           8
        .value_kind:     global_buffer
      - .address_space:  global
        .offset:         8
        .size:           8
        .value_kind:     global_buffer
    .group_segment_fixed_size: 1024
    .kernarg_segment_align: 8
    .kernarg_segment_size: 16
    .language:       OpenCL C
    .language_version:
      - 2
      - 0
    .max_flat_workgroup_size: 256
    .name:           _Z6kernelI6offsetiLj256ELj1ELj100EEvPKT0_PS1_
    .private_segment_fixed_size: 0
    .sgpr_count:     11
    .sgpr_spill_count: 0
    .symbol:         _Z6kernelI6offsetiLj256ELj1ELj100EEvPKT0_PS1_.kd
    .uniform_work_group_size: 1
    .uses_dynamic_stack: false
    .vgpr_count:     6
    .vgpr_spill_count: 0
    .wavefront_size: 64
  - .agpr_count:     0
    .args:
      - .address_space:  global
        .offset:         0
        .size:           8
        .value_kind:     global_buffer
      - .address_space:  global
        .offset:         8
        .size:           8
        .value_kind:     global_buffer
    .group_segment_fixed_size: 1024
    .kernarg_segment_align: 8
    .kernarg_segment_size: 16
    .language:       OpenCL C
    .language_version:
      - 2
      - 0
    .max_flat_workgroup_size: 256
    .name:           _Z6kernelI6offsetfLj256ELj1ELj100EEvPKT0_PS1_
    .private_segment_fixed_size: 0
    .sgpr_count:     11
    .sgpr_spill_count: 0
    .symbol:         _Z6kernelI6offsetfLj256ELj1ELj100EEvPKT0_PS1_.kd
    .uniform_work_group_size: 1
    .uses_dynamic_stack: false
    .vgpr_count:     6
    .vgpr_spill_count: 0
    .wavefront_size: 64
  - .agpr_count:     0
    .args:
      - .address_space:  global
        .offset:         0
        .size:           8
        .value_kind:     global_buffer
      - .address_space:  global
        .offset:         8
        .size:           8
        .value_kind:     global_buffer
    .group_segment_fixed_size: 2048
    .kernarg_segment_align: 8
    .kernarg_segment_size: 16
    .language:       OpenCL C
    .language_version:
      - 2
      - 0
    .max_flat_workgroup_size: 256
    .name:           _Z6kernelI6offsetdLj256ELj1ELj100EEvPKT0_PS1_
    .private_segment_fixed_size: 0
    .sgpr_count:     11
    .sgpr_spill_count: 0
    .symbol:         _Z6kernelI6offsetdLj256ELj1ELj100EEvPKT0_PS1_.kd
    .uniform_work_group_size: 1
    .uses_dynamic_stack: false
    .vgpr_count:     6
    .vgpr_spill_count: 0
    .wavefront_size: 64
  - .agpr_count:     0
    .args:
      - .address_space:  global
        .offset:         0
        .size:           8
        .value_kind:     global_buffer
      - .address_space:  global
        .offset:         8
        .size:           8
        .value_kind:     global_buffer
    .group_segment_fixed_size: 256
    .kernarg_segment_align: 8
    .kernarg_segment_size: 16
    .language:       OpenCL C
    .language_version:
      - 2
      - 0
    .max_flat_workgroup_size: 256
    .name:           _Z6kernelI6offsetaLj256ELj1ELj100EEvPKT0_PS1_
    .private_segment_fixed_size: 0
    .sgpr_count:     11
    .sgpr_spill_count: 0
    .symbol:         _Z6kernelI6offsetaLj256ELj1ELj100EEvPKT0_PS1_.kd
    .uniform_work_group_size: 1
    .uses_dynamic_stack: false
    .vgpr_count:     4
    .vgpr_spill_count: 0
    .wavefront_size: 64
  - .agpr_count:     0
    .args:
      - .address_space:  global
        .offset:         0
        .size:           8
        .value_kind:     global_buffer
      - .address_space:  global
        .offset:         8
        .size:           8
        .value_kind:     global_buffer
    .group_segment_fixed_size: 2048
    .kernarg_segment_align: 8
    .kernarg_segment_size: 16
    .language:       OpenCL C
    .language_version:
      - 2
      - 0
    .max_flat_workgroup_size: 256
    .name:           _Z6kernelI6offsetxLj256ELj1ELj100EEvPKT0_PS1_
    .private_segment_fixed_size: 0
    .sgpr_count:     11
    .sgpr_spill_count: 0
    .symbol:         _Z6kernelI6offsetxLj256ELj1ELj100EEvPKT0_PS1_.kd
    .uniform_work_group_size: 1
    .uses_dynamic_stack: false
    .vgpr_count:     6
    .vgpr_spill_count: 0
    .wavefront_size: 64
  - .agpr_count:     0
    .args:
      - .address_space:  global
        .offset:         0
        .size:           8
        .value_kind:     global_buffer
      - .address_space:  global
        .offset:         8
        .size:           8
        .value_kind:     global_buffer
    .group_segment_fixed_size: 2048
    .kernarg_segment_align: 8
    .kernarg_segment_size: 16
    .language:       OpenCL C
    .language_version:
      - 2
      - 0
    .max_flat_workgroup_size: 256
    .name:           _Z6kernelI6offsetN15benchmark_utils11custom_typeIffEELj256ELj1ELj100EEvPKT0_PS4_
    .private_segment_fixed_size: 0
    .sgpr_count:     11
    .sgpr_spill_count: 0
    .symbol:         _Z6kernelI6offsetN15benchmark_utils11custom_typeIffEELj256ELj1ELj100EEvPKT0_PS4_.kd
    .uniform_work_group_size: 1
    .uses_dynamic_stack: false
    .vgpr_count:     6
    .vgpr_spill_count: 0
    .wavefront_size: 64
  - .agpr_count:     0
    .args:
      - .address_space:  global
        .offset:         0
        .size:           8
        .value_kind:     global_buffer
      - .address_space:  global
        .offset:         8
        .size:           8
        .value_kind:     global_buffer
    .group_segment_fixed_size: 4096
    .kernarg_segment_align: 8
    .kernarg_segment_size: 16
    .language:       OpenCL C
    .language_version:
      - 2
      - 0
    .max_flat_workgroup_size: 256
    .name:           _Z6kernelI6offsetN15benchmark_utils11custom_typeIddEELj256ELj1ELj100EEvPKT0_PS4_
    .private_segment_fixed_size: 0
    .sgpr_count:     11
    .sgpr_spill_count: 0
    .symbol:         _Z6kernelI6offsetN15benchmark_utils11custom_typeIddEELj256ELj1ELj100EEvPKT0_PS4_.kd
    .uniform_work_group_size: 1
    .uses_dynamic_stack: false
    .vgpr_count:     8
    .vgpr_spill_count: 0
    .wavefront_size: 64
  - .agpr_count:     0
    .args:
      - .address_space:  global
        .offset:         0
        .size:           8
        .value_kind:     global_buffer
      - .address_space:  global
        .offset:         8
        .size:           8
        .value_kind:     global_buffer
    .group_segment_fixed_size: 1024
    .kernarg_segment_align: 8
    .kernarg_segment_size: 16
    .language:       OpenCL C
    .language_version:
      - 2
      - 0
    .max_flat_workgroup_size: 256
    .name:           _Z6kernelI6rotateiLj256ELj1ELj100EEvPKT0_PS1_
    .private_segment_fixed_size: 0
    .sgpr_count:     11
    .sgpr_spill_count: 0
    .symbol:         _Z6kernelI6rotateiLj256ELj1ELj100EEvPKT0_PS1_.kd
    .uniform_work_group_size: 1
    .uses_dynamic_stack: false
    .vgpr_count:     6
    .vgpr_spill_count: 0
    .wavefront_size: 64
  - .agpr_count:     0
    .args:
      - .address_space:  global
        .offset:         0
        .size:           8
        .value_kind:     global_buffer
      - .address_space:  global
        .offset:         8
        .size:           8
        .value_kind:     global_buffer
    .group_segment_fixed_size: 1024
    .kernarg_segment_align: 8
    .kernarg_segment_size: 16
    .language:       OpenCL C
    .language_version:
      - 2
      - 0
    .max_flat_workgroup_size: 256
    .name:           _Z6kernelI6rotatefLj256ELj1ELj100EEvPKT0_PS1_
    .private_segment_fixed_size: 0
    .sgpr_count:     11
    .sgpr_spill_count: 0
    .symbol:         _Z6kernelI6rotatefLj256ELj1ELj100EEvPKT0_PS1_.kd
    .uniform_work_group_size: 1
    .uses_dynamic_stack: false
    .vgpr_count:     6
    .vgpr_spill_count: 0
    .wavefront_size: 64
  - .agpr_count:     0
    .args:
      - .address_space:  global
        .offset:         0
        .size:           8
        .value_kind:     global_buffer
      - .address_space:  global
        .offset:         8
        .size:           8
        .value_kind:     global_buffer
    .group_segment_fixed_size: 2048
    .kernarg_segment_align: 8
    .kernarg_segment_size: 16
    .language:       OpenCL C
    .language_version:
      - 2
      - 0
    .max_flat_workgroup_size: 256
    .name:           _Z6kernelI6rotatedLj256ELj1ELj100EEvPKT0_PS1_
    .private_segment_fixed_size: 0
    .sgpr_count:     11
    .sgpr_spill_count: 0
    .symbol:         _Z6kernelI6rotatedLj256ELj1ELj100EEvPKT0_PS1_.kd
    .uniform_work_group_size: 1
    .uses_dynamic_stack: false
    .vgpr_count:     7
    .vgpr_spill_count: 0
    .wavefront_size: 64
  - .agpr_count:     0
    .args:
      - .address_space:  global
        .offset:         0
        .size:           8
        .value_kind:     global_buffer
      - .address_space:  global
        .offset:         8
        .size:           8
        .value_kind:     global_buffer
    .group_segment_fixed_size: 256
    .kernarg_segment_align: 8
    .kernarg_segment_size: 16
    .language:       OpenCL C
    .language_version:
      - 2
      - 0
    .max_flat_workgroup_size: 256
    .name:           _Z6kernelI6rotateaLj256ELj1ELj100EEvPKT0_PS1_
    .private_segment_fixed_size: 0
    .sgpr_count:     11
    .sgpr_spill_count: 0
    .symbol:         _Z6kernelI6rotateaLj256ELj1ELj100EEvPKT0_PS1_.kd
    .uniform_work_group_size: 1
    .uses_dynamic_stack: false
    .vgpr_count:     4
    .vgpr_spill_count: 0
    .wavefront_size: 64
  - .agpr_count:     0
    .args:
      - .address_space:  global
        .offset:         0
        .size:           8
        .value_kind:     global_buffer
      - .address_space:  global
        .offset:         8
        .size:           8
        .value_kind:     global_buffer
    .group_segment_fixed_size: 2048
    .kernarg_segment_align: 8
    .kernarg_segment_size: 16
    .language:       OpenCL C
    .language_version:
      - 2
      - 0
    .max_flat_workgroup_size: 256
    .name:           _Z6kernelI6rotatexLj256ELj1ELj100EEvPKT0_PS1_
    .private_segment_fixed_size: 0
    .sgpr_count:     11
    .sgpr_spill_count: 0
    .symbol:         _Z6kernelI6rotatexLj256ELj1ELj100EEvPKT0_PS1_.kd
    .uniform_work_group_size: 1
    .uses_dynamic_stack: false
    .vgpr_count:     7
    .vgpr_spill_count: 0
    .wavefront_size: 64
  - .agpr_count:     0
    .args:
      - .address_space:  global
        .offset:         0
        .size:           8
        .value_kind:     global_buffer
      - .address_space:  global
        .offset:         8
        .size:           8
        .value_kind:     global_buffer
    .group_segment_fixed_size: 2048
    .kernarg_segment_align: 8
    .kernarg_segment_size: 16
    .language:       OpenCL C
    .language_version:
      - 2
      - 0
    .max_flat_workgroup_size: 256
    .name:           _Z6kernelI6rotateN15benchmark_utils11custom_typeIffEELj256ELj1ELj100EEvPKT0_PS4_
    .private_segment_fixed_size: 0
    .sgpr_count:     11
    .sgpr_spill_count: 0
    .symbol:         _Z6kernelI6rotateN15benchmark_utils11custom_typeIffEELj256ELj1ELj100EEvPKT0_PS4_.kd
    .uniform_work_group_size: 1
    .uses_dynamic_stack: false
    .vgpr_count:     7
    .vgpr_spill_count: 0
    .wavefront_size: 64
  - .agpr_count:     0
    .args:
      - .address_space:  global
        .offset:         0
        .size:           8
        .value_kind:     global_buffer
      - .address_space:  global
        .offset:         8
        .size:           8
        .value_kind:     global_buffer
    .group_segment_fixed_size: 4096
    .kernarg_segment_align: 8
    .kernarg_segment_size: 16
    .language:       OpenCL C
    .language_version:
      - 2
      - 0
    .max_flat_workgroup_size: 256
    .name:           _Z6kernelI6rotateN15benchmark_utils11custom_typeIddEELj256ELj1ELj100EEvPKT0_PS4_
    .private_segment_fixed_size: 0
    .sgpr_count:     11
    .sgpr_spill_count: 0
    .symbol:         _Z6kernelI6rotateN15benchmark_utils11custom_typeIddEELj256ELj1ELj100EEvPKT0_PS4_.kd
    .uniform_work_group_size: 1
    .uses_dynamic_stack: false
    .vgpr_count:     9
    .vgpr_spill_count: 0
    .wavefront_size: 64
  - .agpr_count:     0
    .args:
      - .address_space:  global
        .offset:         0
        .size:           8
        .value_kind:     global_buffer
      - .address_space:  global
        .offset:         8
        .size:           8
        .value_kind:     global_buffer
    .group_segment_fixed_size: 1024
    .kernarg_segment_align: 8
    .kernarg_segment_size: 16
    .language:       OpenCL C
    .language_version:
      - 2
      - 0
    .max_flat_workgroup_size: 256
    .name:           _Z6kernelI2upiLj256ELj1ELj100EEvPKT0_PS1_
    .private_segment_fixed_size: 0
    .sgpr_count:     11
    .sgpr_spill_count: 0
    .symbol:         _Z6kernelI2upiLj256ELj1ELj100EEvPKT0_PS1_.kd
    .uniform_work_group_size: 1
    .uses_dynamic_stack: false
    .vgpr_count:     6
    .vgpr_spill_count: 0
    .wavefront_size: 64
  - .agpr_count:     0
    .args:
      - .address_space:  global
        .offset:         0
        .size:           8
        .value_kind:     global_buffer
      - .address_space:  global
        .offset:         8
        .size:           8
        .value_kind:     global_buffer
    .group_segment_fixed_size: 1024
    .kernarg_segment_align: 8
    .kernarg_segment_size: 16
    .language:       OpenCL C
    .language_version:
      - 2
      - 0
    .max_flat_workgroup_size: 256
    .name:           _Z6kernelI2upiLj256ELj3ELj100EEvPKT0_PS1_
    .private_segment_fixed_size: 0
    .sgpr_count:     11
    .sgpr_spill_count: 0
    .symbol:         _Z6kernelI2upiLj256ELj3ELj100EEvPKT0_PS1_.kd
    .uniform_work_group_size: 1
    .uses_dynamic_stack: false
    .vgpr_count:     18
    .vgpr_spill_count: 0
    .wavefront_size: 64
  - .agpr_count:     0
    .args:
      - .address_space:  global
        .offset:         0
        .size:           8
        .value_kind:     global_buffer
      - .address_space:  global
        .offset:         8
        .size:           8
        .value_kind:     global_buffer
    .group_segment_fixed_size: 1024
    .kernarg_segment_align: 8
    .kernarg_segment_size: 16
    .language:       OpenCL C
    .language_version:
      - 2
      - 0
    .max_flat_workgroup_size: 256
    .name:           _Z6kernelI2upiLj256ELj4ELj100EEvPKT0_PS1_
    .private_segment_fixed_size: 0
    .sgpr_count:     11
    .sgpr_spill_count: 0
    .symbol:         _Z6kernelI2upiLj256ELj4ELj100EEvPKT0_PS1_.kd
    .uniform_work_group_size: 1
    .uses_dynamic_stack: false
    .vgpr_count:     13
    .vgpr_spill_count: 0
    .wavefront_size: 64
  - .agpr_count:     0
    .args:
      - .address_space:  global
        .offset:         0
        .size:           8
        .value_kind:     global_buffer
      - .address_space:  global
        .offset:         8
        .size:           8
        .value_kind:     global_buffer
    .group_segment_fixed_size: 1024
    .kernarg_segment_align: 8
    .kernarg_segment_size: 16
    .language:       OpenCL C
    .language_version:
      - 2
      - 0
    .max_flat_workgroup_size: 256
    .name:           _Z6kernelI2upiLj256ELj8ELj100EEvPKT0_PS1_
    .private_segment_fixed_size: 0
    .sgpr_count:     11
    .sgpr_spill_count: 0
    .symbol:         _Z6kernelI2upiLj256ELj8ELj100EEvPKT0_PS1_.kd
    .uniform_work_group_size: 1
    .uses_dynamic_stack: false
    .vgpr_count:     22
    .vgpr_spill_count: 0
    .wavefront_size: 64
  - .agpr_count:     0
    .args:
      - .address_space:  global
        .offset:         0
        .size:           8
        .value_kind:     global_buffer
      - .address_space:  global
        .offset:         8
        .size:           8
        .value_kind:     global_buffer
    .group_segment_fixed_size: 1024
    .kernarg_segment_align: 8
    .kernarg_segment_size: 16
    .language:       OpenCL C
    .language_version:
      - 2
      - 0
    .max_flat_workgroup_size: 256
    .name:           _Z6kernelI2upiLj256ELj16ELj100EEvPKT0_PS1_
    .private_segment_fixed_size: 0
    .sgpr_count:     11
    .sgpr_spill_count: 0
    .symbol:         _Z6kernelI2upiLj256ELj16ELj100EEvPKT0_PS1_.kd
    .uniform_work_group_size: 1
    .uses_dynamic_stack: false
    .vgpr_count:     22
    .vgpr_spill_count: 0
    .wavefront_size: 64
  - .agpr_count:     0
    .args:
      - .address_space:  global
        .offset:         0
        .size:           8
        .value_kind:     global_buffer
      - .address_space:  global
        .offset:         8
        .size:           8
        .value_kind:     global_buffer
    .group_segment_fixed_size: 1024
    .kernarg_segment_align: 8
    .kernarg_segment_size: 16
    .language:       OpenCL C
    .language_version:
      - 2
      - 0
    .max_flat_workgroup_size: 256
    .name:           _Z6kernelI2upiLj256ELj32ELj100EEvPKT0_PS1_
    .private_segment_fixed_size: 0
    .sgpr_count:     11
    .sgpr_spill_count: 0
    .symbol:         _Z6kernelI2upiLj256ELj32ELj100EEvPKT0_PS1_.kd
    .uniform_work_group_size: 1
    .uses_dynamic_stack: false
    .vgpr_count:     38
    .vgpr_spill_count: 0
    .wavefront_size: 64
  - .agpr_count:     0
    .args:
      - .address_space:  global
        .offset:         0
        .size:           8
        .value_kind:     global_buffer
      - .address_space:  global
        .offset:         8
        .size:           8
        .value_kind:     global_buffer
    .group_segment_fixed_size: 1024
    .kernarg_segment_align: 8
    .kernarg_segment_size: 16
    .language:       OpenCL C
    .language_version:
      - 2
      - 0
    .max_flat_workgroup_size: 256
    .name:           _Z6kernelI2upfLj256ELj1ELj100EEvPKT0_PS1_
    .private_segment_fixed_size: 0
    .sgpr_count:     11
    .sgpr_spill_count: 0
    .symbol:         _Z6kernelI2upfLj256ELj1ELj100EEvPKT0_PS1_.kd
    .uniform_work_group_size: 1
    .uses_dynamic_stack: false
    .vgpr_count:     6
    .vgpr_spill_count: 0
    .wavefront_size: 64
  - .agpr_count:     0
    .args:
      - .address_space:  global
        .offset:         0
        .size:           8
        .value_kind:     global_buffer
      - .address_space:  global
        .offset:         8
        .size:           8
        .value_kind:     global_buffer
    .group_segment_fixed_size: 1024
    .kernarg_segment_align: 8
    .kernarg_segment_size: 16
    .language:       OpenCL C
    .language_version:
      - 2
      - 0
    .max_flat_workgroup_size: 256
    .name:           _Z6kernelI2upfLj256ELj3ELj100EEvPKT0_PS1_
    .private_segment_fixed_size: 0
    .sgpr_count:     11
    .sgpr_spill_count: 0
    .symbol:         _Z6kernelI2upfLj256ELj3ELj100EEvPKT0_PS1_.kd
    .uniform_work_group_size: 1
    .uses_dynamic_stack: false
    .vgpr_count:     18
    .vgpr_spill_count: 0
    .wavefront_size: 64
  - .agpr_count:     0
    .args:
      - .address_space:  global
        .offset:         0
        .size:           8
        .value_kind:     global_buffer
      - .address_space:  global
        .offset:         8
        .size:           8
        .value_kind:     global_buffer
    .group_segment_fixed_size: 1024
    .kernarg_segment_align: 8
    .kernarg_segment_size: 16
    .language:       OpenCL C
    .language_version:
      - 2
      - 0
    .max_flat_workgroup_size: 256
    .name:           _Z6kernelI2upfLj256ELj4ELj100EEvPKT0_PS1_
    .private_segment_fixed_size: 0
    .sgpr_count:     11
    .sgpr_spill_count: 0
    .symbol:         _Z6kernelI2upfLj256ELj4ELj100EEvPKT0_PS1_.kd
    .uniform_work_group_size: 1
    .uses_dynamic_stack: false
    .vgpr_count:     13
    .vgpr_spill_count: 0
    .wavefront_size: 64
  - .agpr_count:     0
    .args:
      - .address_space:  global
        .offset:         0
        .size:           8
        .value_kind:     global_buffer
      - .address_space:  global
        .offset:         8
        .size:           8
        .value_kind:     global_buffer
    .group_segment_fixed_size: 1024
    .kernarg_segment_align: 8
    .kernarg_segment_size: 16
    .language:       OpenCL C
    .language_version:
      - 2
      - 0
    .max_flat_workgroup_size: 256
    .name:           _Z6kernelI2upfLj256ELj8ELj100EEvPKT0_PS1_
    .private_segment_fixed_size: 0
    .sgpr_count:     11
    .sgpr_spill_count: 0
    .symbol:         _Z6kernelI2upfLj256ELj8ELj100EEvPKT0_PS1_.kd
    .uniform_work_group_size: 1
    .uses_dynamic_stack: false
    .vgpr_count:     22
    .vgpr_spill_count: 0
    .wavefront_size: 64
  - .agpr_count:     0
    .args:
      - .address_space:  global
        .offset:         0
        .size:           8
        .value_kind:     global_buffer
      - .address_space:  global
        .offset:         8
        .size:           8
        .value_kind:     global_buffer
    .group_segment_fixed_size: 1024
    .kernarg_segment_align: 8
    .kernarg_segment_size: 16
    .language:       OpenCL C
    .language_version:
      - 2
      - 0
    .max_flat_workgroup_size: 256
    .name:           _Z6kernelI2upfLj256ELj16ELj100EEvPKT0_PS1_
    .private_segment_fixed_size: 0
    .sgpr_count:     11
    .sgpr_spill_count: 0
    .symbol:         _Z6kernelI2upfLj256ELj16ELj100EEvPKT0_PS1_.kd
    .uniform_work_group_size: 1
    .uses_dynamic_stack: false
    .vgpr_count:     22
    .vgpr_spill_count: 0
    .wavefront_size: 64
  - .agpr_count:     0
    .args:
      - .address_space:  global
        .offset:         0
        .size:           8
        .value_kind:     global_buffer
      - .address_space:  global
        .offset:         8
        .size:           8
        .value_kind:     global_buffer
    .group_segment_fixed_size: 1024
    .kernarg_segment_align: 8
    .kernarg_segment_size: 16
    .language:       OpenCL C
    .language_version:
      - 2
      - 0
    .max_flat_workgroup_size: 256
    .name:           _Z6kernelI2upfLj256ELj32ELj100EEvPKT0_PS1_
    .private_segment_fixed_size: 0
    .sgpr_count:     11
    .sgpr_spill_count: 0
    .symbol:         _Z6kernelI2upfLj256ELj32ELj100EEvPKT0_PS1_.kd
    .uniform_work_group_size: 1
    .uses_dynamic_stack: false
    .vgpr_count:     38
    .vgpr_spill_count: 0
    .wavefront_size: 64
  - .agpr_count:     0
    .args:
      - .address_space:  global
        .offset:         0
        .size:           8
        .value_kind:     global_buffer
      - .address_space:  global
        .offset:         8
        .size:           8
        .value_kind:     global_buffer
    .group_segment_fixed_size: 2048
    .kernarg_segment_align: 8
    .kernarg_segment_size: 16
    .language:       OpenCL C
    .language_version:
      - 2
      - 0
    .max_flat_workgroup_size: 256
    .name:           _Z6kernelI2updLj256ELj1ELj100EEvPKT0_PS1_
    .private_segment_fixed_size: 0
    .sgpr_count:     11
    .sgpr_spill_count: 0
    .symbol:         _Z6kernelI2updLj256ELj1ELj100EEvPKT0_PS1_.kd
    .uniform_work_group_size: 1
    .uses_dynamic_stack: false
    .vgpr_count:     6
    .vgpr_spill_count: 0
    .wavefront_size: 64
  - .agpr_count:     0
    .args:
      - .address_space:  global
        .offset:         0
        .size:           8
        .value_kind:     global_buffer
      - .address_space:  global
        .offset:         8
        .size:           8
        .value_kind:     global_buffer
    .group_segment_fixed_size: 2048
    .kernarg_segment_align: 8
    .kernarg_segment_size: 16
    .language:       OpenCL C
    .language_version:
      - 2
      - 0
    .max_flat_workgroup_size: 256
    .name:           _Z6kernelI2updLj256ELj3ELj100EEvPKT0_PS1_
    .private_segment_fixed_size: 0
    .sgpr_count:     11
    .sgpr_spill_count: 0
    .symbol:         _Z6kernelI2updLj256ELj3ELj100EEvPKT0_PS1_.kd
    .uniform_work_group_size: 1
    .uses_dynamic_stack: false
    .vgpr_count:     20
    .vgpr_spill_count: 0
    .wavefront_size: 64
  - .agpr_count:     0
    .args:
      - .address_space:  global
        .offset:         0
        .size:           8
        .value_kind:     global_buffer
      - .address_space:  global
        .offset:         8
        .size:           8
        .value_kind:     global_buffer
    .group_segment_fixed_size: 2048
    .kernarg_segment_align: 8
    .kernarg_segment_size: 16
    .language:       OpenCL C
    .language_version:
      - 2
      - 0
    .max_flat_workgroup_size: 256
    .name:           _Z6kernelI2updLj256ELj4ELj100EEvPKT0_PS1_
    .private_segment_fixed_size: 0
    .sgpr_count:     11
    .sgpr_spill_count: 0
    .symbol:         _Z6kernelI2updLj256ELj4ELj100EEvPKT0_PS1_.kd
    .uniform_work_group_size: 1
    .uses_dynamic_stack: false
    .vgpr_count:     14
    .vgpr_spill_count: 0
    .wavefront_size: 64
  - .agpr_count:     0
    .args:
      - .address_space:  global
        .offset:         0
        .size:           8
        .value_kind:     global_buffer
      - .address_space:  global
        .offset:         8
        .size:           8
        .value_kind:     global_buffer
    .group_segment_fixed_size: 2048
    .kernarg_segment_align: 8
    .kernarg_segment_size: 16
    .language:       OpenCL C
    .language_version:
      - 2
      - 0
    .max_flat_workgroup_size: 256
    .name:           _Z6kernelI2updLj256ELj8ELj100EEvPKT0_PS1_
    .private_segment_fixed_size: 0
    .sgpr_count:     11
    .sgpr_spill_count: 0
    .symbol:         _Z6kernelI2updLj256ELj8ELj100EEvPKT0_PS1_.kd
    .uniform_work_group_size: 1
    .uses_dynamic_stack: false
    .vgpr_count:     24
    .vgpr_spill_count: 0
    .wavefront_size: 64
  - .agpr_count:     0
    .args:
      - .address_space:  global
        .offset:         0
        .size:           8
        .value_kind:     global_buffer
      - .address_space:  global
        .offset:         8
        .size:           8
        .value_kind:     global_buffer
    .group_segment_fixed_size: 2048
    .kernarg_segment_align: 8
    .kernarg_segment_size: 16
    .language:       OpenCL C
    .language_version:
      - 2
      - 0
    .max_flat_workgroup_size: 256
    .name:           _Z6kernelI2updLj256ELj16ELj100EEvPKT0_PS1_
    .private_segment_fixed_size: 0
    .sgpr_count:     11
    .sgpr_spill_count: 0
    .symbol:         _Z6kernelI2updLj256ELj16ELj100EEvPKT0_PS1_.kd
    .uniform_work_group_size: 1
    .uses_dynamic_stack: false
    .vgpr_count:     38
    .vgpr_spill_count: 0
    .wavefront_size: 64
  - .agpr_count:     0
    .args:
      - .address_space:  global
        .offset:         0
        .size:           8
        .value_kind:     global_buffer
      - .address_space:  global
        .offset:         8
        .size:           8
        .value_kind:     global_buffer
    .group_segment_fixed_size: 2048
    .kernarg_segment_align: 8
    .kernarg_segment_size: 16
    .language:       OpenCL C
    .language_version:
      - 2
      - 0
    .max_flat_workgroup_size: 256
    .name:           _Z6kernelI2updLj256ELj32ELj100EEvPKT0_PS1_
    .private_segment_fixed_size: 0
    .sgpr_count:     11
    .sgpr_spill_count: 0
    .symbol:         _Z6kernelI2updLj256ELj32ELj100EEvPKT0_PS1_.kd
    .uniform_work_group_size: 1
    .uses_dynamic_stack: false
    .vgpr_count:     70
    .vgpr_spill_count: 0
    .wavefront_size: 64
  - .agpr_count:     0
    .args:
      - .address_space:  global
        .offset:         0
        .size:           8
        .value_kind:     global_buffer
      - .address_space:  global
        .offset:         8
        .size:           8
        .value_kind:     global_buffer
    .group_segment_fixed_size: 256
    .kernarg_segment_align: 8
    .kernarg_segment_size: 16
    .language:       OpenCL C
    .language_version:
      - 2
      - 0
    .max_flat_workgroup_size: 256
    .name:           _Z6kernelI2upaLj256ELj1ELj100EEvPKT0_PS1_
    .private_segment_fixed_size: 0
    .sgpr_count:     11
    .sgpr_spill_count: 0
    .symbol:         _Z6kernelI2upaLj256ELj1ELj100EEvPKT0_PS1_.kd
    .uniform_work_group_size: 1
    .uses_dynamic_stack: false
    .vgpr_count:     4
    .vgpr_spill_count: 0
    .wavefront_size: 64
  - .agpr_count:     0
    .args:
      - .address_space:  global
        .offset:         0
        .size:           8
        .value_kind:     global_buffer
      - .address_space:  global
        .offset:         8
        .size:           8
        .value_kind:     global_buffer
    .group_segment_fixed_size: 256
    .kernarg_segment_align: 8
    .kernarg_segment_size: 16
    .language:       OpenCL C
    .language_version:
      - 2
      - 0
    .max_flat_workgroup_size: 256
    .name:           _Z6kernelI2upaLj256ELj3ELj100EEvPKT0_PS1_
    .private_segment_fixed_size: 0
    .sgpr_count:     11
    .sgpr_spill_count: 0
    .symbol:         _Z6kernelI2upaLj256ELj3ELj100EEvPKT0_PS1_.kd
    .uniform_work_group_size: 1
    .uses_dynamic_stack: false
    .vgpr_count:     9
    .vgpr_spill_count: 0
    .wavefront_size: 64
  - .agpr_count:     0
    .args:
      - .address_space:  global
        .offset:         0
        .size:           8
        .value_kind:     global_buffer
      - .address_space:  global
        .offset:         8
        .size:           8
        .value_kind:     global_buffer
    .group_segment_fixed_size: 256
    .kernarg_segment_align: 8
    .kernarg_segment_size: 16
    .language:       OpenCL C
    .language_version:
      - 2
      - 0
    .max_flat_workgroup_size: 256
    .name:           _Z6kernelI2upaLj256ELj4ELj100EEvPKT0_PS1_
    .private_segment_fixed_size: 0
    .sgpr_count:     11
    .sgpr_spill_count: 0
    .symbol:         _Z6kernelI2upaLj256ELj4ELj100EEvPKT0_PS1_.kd
    .uniform_work_group_size: 1
    .uses_dynamic_stack: false
    .vgpr_count:     5
    .vgpr_spill_count: 0
    .wavefront_size: 64
  - .agpr_count:     0
    .args:
      - .address_space:  global
        .offset:         0
        .size:           8
        .value_kind:     global_buffer
      - .address_space:  global
        .offset:         8
        .size:           8
        .value_kind:     global_buffer
    .group_segment_fixed_size: 256
    .kernarg_segment_align: 8
    .kernarg_segment_size: 16
    .language:       OpenCL C
    .language_version:
      - 2
      - 0
    .max_flat_workgroup_size: 256
    .name:           _Z6kernelI2upaLj256ELj8ELj100EEvPKT0_PS1_
    .private_segment_fixed_size: 0
    .sgpr_count:     12
    .sgpr_spill_count: 0
    .symbol:         _Z6kernelI2upaLj256ELj8ELj100EEvPKT0_PS1_.kd
    .uniform_work_group_size: 1
    .uses_dynamic_stack: false
    .vgpr_count:     6
    .vgpr_spill_count: 0
    .wavefront_size: 64
  - .agpr_count:     0
    .args:
      - .address_space:  global
        .offset:         0
        .size:           8
        .value_kind:     global_buffer
      - .address_space:  global
        .offset:         8
        .size:           8
        .value_kind:     global_buffer
    .group_segment_fixed_size: 256
    .kernarg_segment_align: 8
    .kernarg_segment_size: 16
    .language:       OpenCL C
    .language_version:
      - 2
      - 0
    .max_flat_workgroup_size: 256
    .name:           _Z6kernelI2upaLj256ELj16ELj100EEvPKT0_PS1_
    .private_segment_fixed_size: 0
    .sgpr_count:     12
    .sgpr_spill_count: 0
    .symbol:         _Z6kernelI2upaLj256ELj16ELj100EEvPKT0_PS1_.kd
    .uniform_work_group_size: 1
    .uses_dynamic_stack: false
    .vgpr_count:     12
    .vgpr_spill_count: 0
    .wavefront_size: 64
  - .agpr_count:     0
    .args:
      - .address_space:  global
        .offset:         0
        .size:           8
        .value_kind:     global_buffer
      - .address_space:  global
        .offset:         8
        .size:           8
        .value_kind:     global_buffer
    .group_segment_fixed_size: 256
    .kernarg_segment_align: 8
    .kernarg_segment_size: 16
    .language:       OpenCL C
    .language_version:
      - 2
      - 0
    .max_flat_workgroup_size: 256
    .name:           _Z6kernelI2upaLj256ELj32ELj100EEvPKT0_PS1_
    .private_segment_fixed_size: 0
    .sgpr_count:     11
    .sgpr_spill_count: 0
    .symbol:         _Z6kernelI2upaLj256ELj32ELj100EEvPKT0_PS1_.kd
    .uniform_work_group_size: 1
    .uses_dynamic_stack: false
    .vgpr_count:     36
    .vgpr_spill_count: 0
    .wavefront_size: 64
  - .agpr_count:     0
    .args:
      - .address_space:  global
        .offset:         0
        .size:           8
        .value_kind:     global_buffer
      - .address_space:  global
        .offset:         8
        .size:           8
        .value_kind:     global_buffer
    .group_segment_fixed_size: 2048
    .kernarg_segment_align: 8
    .kernarg_segment_size: 16
    .language:       OpenCL C
    .language_version:
      - 2
      - 0
    .max_flat_workgroup_size: 256
    .name:           _Z6kernelI2upxLj256ELj1ELj100EEvPKT0_PS1_
    .private_segment_fixed_size: 0
    .sgpr_count:     11
    .sgpr_spill_count: 0
    .symbol:         _Z6kernelI2upxLj256ELj1ELj100EEvPKT0_PS1_.kd
    .uniform_work_group_size: 1
    .uses_dynamic_stack: false
    .vgpr_count:     6
    .vgpr_spill_count: 0
    .wavefront_size: 64
  - .agpr_count:     0
    .args:
      - .address_space:  global
        .offset:         0
        .size:           8
        .value_kind:     global_buffer
      - .address_space:  global
        .offset:         8
        .size:           8
        .value_kind:     global_buffer
    .group_segment_fixed_size: 2048
    .kernarg_segment_align: 8
    .kernarg_segment_size: 16
    .language:       OpenCL C
    .language_version:
      - 2
      - 0
    .max_flat_workgroup_size: 256
    .name:           _Z6kernelI2upxLj256ELj3ELj100EEvPKT0_PS1_
    .private_segment_fixed_size: 0
    .sgpr_count:     11
    .sgpr_spill_count: 0
    .symbol:         _Z6kernelI2upxLj256ELj3ELj100EEvPKT0_PS1_.kd
    .uniform_work_group_size: 1
    .uses_dynamic_stack: false
    .vgpr_count:     20
    .vgpr_spill_count: 0
    .wavefront_size: 64
  - .agpr_count:     0
    .args:
      - .address_space:  global
        .offset:         0
        .size:           8
        .value_kind:     global_buffer
      - .address_space:  global
        .offset:         8
        .size:           8
        .value_kind:     global_buffer
    .group_segment_fixed_size: 2048
    .kernarg_segment_align: 8
    .kernarg_segment_size: 16
    .language:       OpenCL C
    .language_version:
      - 2
      - 0
    .max_flat_workgroup_size: 256
    .name:           _Z6kernelI2upxLj256ELj4ELj100EEvPKT0_PS1_
    .private_segment_fixed_size: 0
    .sgpr_count:     11
    .sgpr_spill_count: 0
    .symbol:         _Z6kernelI2upxLj256ELj4ELj100EEvPKT0_PS1_.kd
    .uniform_work_group_size: 1
    .uses_dynamic_stack: false
    .vgpr_count:     14
    .vgpr_spill_count: 0
    .wavefront_size: 64
  - .agpr_count:     0
    .args:
      - .address_space:  global
        .offset:         0
        .size:           8
        .value_kind:     global_buffer
      - .address_space:  global
        .offset:         8
        .size:           8
        .value_kind:     global_buffer
    .group_segment_fixed_size: 2048
    .kernarg_segment_align: 8
    .kernarg_segment_size: 16
    .language:       OpenCL C
    .language_version:
      - 2
      - 0
    .max_flat_workgroup_size: 256
    .name:           _Z6kernelI2upxLj256ELj8ELj100EEvPKT0_PS1_
    .private_segment_fixed_size: 0
    .sgpr_count:     11
    .sgpr_spill_count: 0
    .symbol:         _Z6kernelI2upxLj256ELj8ELj100EEvPKT0_PS1_.kd
    .uniform_work_group_size: 1
    .uses_dynamic_stack: false
    .vgpr_count:     24
    .vgpr_spill_count: 0
    .wavefront_size: 64
  - .agpr_count:     0
    .args:
      - .address_space:  global
        .offset:         0
        .size:           8
        .value_kind:     global_buffer
      - .address_space:  global
        .offset:         8
        .size:           8
        .value_kind:     global_buffer
    .group_segment_fixed_size: 2048
    .kernarg_segment_align: 8
    .kernarg_segment_size: 16
    .language:       OpenCL C
    .language_version:
      - 2
      - 0
    .max_flat_workgroup_size: 256
    .name:           _Z6kernelI2upxLj256ELj16ELj100EEvPKT0_PS1_
    .private_segment_fixed_size: 0
    .sgpr_count:     11
    .sgpr_spill_count: 0
    .symbol:         _Z6kernelI2upxLj256ELj16ELj100EEvPKT0_PS1_.kd
    .uniform_work_group_size: 1
    .uses_dynamic_stack: false
    .vgpr_count:     38
    .vgpr_spill_count: 0
    .wavefront_size: 64
  - .agpr_count:     0
    .args:
      - .address_space:  global
        .offset:         0
        .size:           8
        .value_kind:     global_buffer
      - .address_space:  global
        .offset:         8
        .size:           8
        .value_kind:     global_buffer
    .group_segment_fixed_size: 2048
    .kernarg_segment_align: 8
    .kernarg_segment_size: 16
    .language:       OpenCL C
    .language_version:
      - 2
      - 0
    .max_flat_workgroup_size: 256
    .name:           _Z6kernelI2upxLj256ELj32ELj100EEvPKT0_PS1_
    .private_segment_fixed_size: 0
    .sgpr_count:     11
    .sgpr_spill_count: 0
    .symbol:         _Z6kernelI2upxLj256ELj32ELj100EEvPKT0_PS1_.kd
    .uniform_work_group_size: 1
    .uses_dynamic_stack: false
    .vgpr_count:     70
    .vgpr_spill_count: 0
    .wavefront_size: 64
  - .agpr_count:     0
    .args:
      - .address_space:  global
        .offset:         0
        .size:           8
        .value_kind:     global_buffer
      - .address_space:  global
        .offset:         8
        .size:           8
        .value_kind:     global_buffer
    .group_segment_fixed_size: 2048
    .kernarg_segment_align: 8
    .kernarg_segment_size: 16
    .language:       OpenCL C
    .language_version:
      - 2
      - 0
    .max_flat_workgroup_size: 256
    .name:           _Z6kernelI2upN15benchmark_utils11custom_typeIffEELj256ELj1ELj100EEvPKT0_PS4_
    .private_segment_fixed_size: 0
    .sgpr_count:     11
    .sgpr_spill_count: 0
    .symbol:         _Z6kernelI2upN15benchmark_utils11custom_typeIffEELj256ELj1ELj100EEvPKT0_PS4_.kd
    .uniform_work_group_size: 1
    .uses_dynamic_stack: false
    .vgpr_count:     6
    .vgpr_spill_count: 0
    .wavefront_size: 64
  - .agpr_count:     0
    .args:
      - .address_space:  global
        .offset:         0
        .size:           8
        .value_kind:     global_buffer
      - .address_space:  global
        .offset:         8
        .size:           8
        .value_kind:     global_buffer
    .group_segment_fixed_size: 2048
    .kernarg_segment_align: 8
    .kernarg_segment_size: 16
    .language:       OpenCL C
    .language_version:
      - 2
      - 0
    .max_flat_workgroup_size: 256
    .name:           _Z6kernelI2upN15benchmark_utils11custom_typeIffEELj256ELj3ELj100EEvPKT0_PS4_
    .private_segment_fixed_size: 0
    .sgpr_count:     11
    .sgpr_spill_count: 0
    .symbol:         _Z6kernelI2upN15benchmark_utils11custom_typeIffEELj256ELj3ELj100EEvPKT0_PS4_.kd
    .uniform_work_group_size: 1
    .uses_dynamic_stack: false
    .vgpr_count:     20
    .vgpr_spill_count: 0
    .wavefront_size: 64
  - .agpr_count:     0
    .args:
      - .address_space:  global
        .offset:         0
        .size:           8
        .value_kind:     global_buffer
      - .address_space:  global
        .offset:         8
        .size:           8
        .value_kind:     global_buffer
    .group_segment_fixed_size: 2048
    .kernarg_segment_align: 8
    .kernarg_segment_size: 16
    .language:       OpenCL C
    .language_version:
      - 2
      - 0
    .max_flat_workgroup_size: 256
    .name:           _Z6kernelI2upN15benchmark_utils11custom_typeIffEELj256ELj4ELj100EEvPKT0_PS4_
    .private_segment_fixed_size: 0
    .sgpr_count:     11
    .sgpr_spill_count: 0
    .symbol:         _Z6kernelI2upN15benchmark_utils11custom_typeIffEELj256ELj4ELj100EEvPKT0_PS4_.kd
    .uniform_work_group_size: 1
    .uses_dynamic_stack: false
    .vgpr_count:     14
    .vgpr_spill_count: 0
    .wavefront_size: 64
  - .agpr_count:     0
    .args:
      - .address_space:  global
        .offset:         0
        .size:           8
        .value_kind:     global_buffer
      - .address_space:  global
        .offset:         8
        .size:           8
        .value_kind:     global_buffer
    .group_segment_fixed_size: 2048
    .kernarg_segment_align: 8
    .kernarg_segment_size: 16
    .language:       OpenCL C
    .language_version:
      - 2
      - 0
    .max_flat_workgroup_size: 256
    .name:           _Z6kernelI2upN15benchmark_utils11custom_typeIffEELj256ELj8ELj100EEvPKT0_PS4_
    .private_segment_fixed_size: 0
    .sgpr_count:     11
    .sgpr_spill_count: 0
    .symbol:         _Z6kernelI2upN15benchmark_utils11custom_typeIffEELj256ELj8ELj100EEvPKT0_PS4_.kd
    .uniform_work_group_size: 1
    .uses_dynamic_stack: false
    .vgpr_count:     24
    .vgpr_spill_count: 0
    .wavefront_size: 64
  - .agpr_count:     0
    .args:
      - .address_space:  global
        .offset:         0
        .size:           8
        .value_kind:     global_buffer
      - .address_space:  global
        .offset:         8
        .size:           8
        .value_kind:     global_buffer
    .group_segment_fixed_size: 2048
    .kernarg_segment_align: 8
    .kernarg_segment_size: 16
    .language:       OpenCL C
    .language_version:
      - 2
      - 0
    .max_flat_workgroup_size: 256
    .name:           _Z6kernelI2upN15benchmark_utils11custom_typeIffEELj256ELj16ELj100EEvPKT0_PS4_
    .private_segment_fixed_size: 0
    .sgpr_count:     11
    .sgpr_spill_count: 0
    .symbol:         _Z6kernelI2upN15benchmark_utils11custom_typeIffEELj256ELj16ELj100EEvPKT0_PS4_.kd
    .uniform_work_group_size: 1
    .uses_dynamic_stack: false
    .vgpr_count:     38
    .vgpr_spill_count: 0
    .wavefront_size: 64
  - .agpr_count:     0
    .args:
      - .address_space:  global
        .offset:         0
        .size:           8
        .value_kind:     global_buffer
      - .address_space:  global
        .offset:         8
        .size:           8
        .value_kind:     global_buffer
    .group_segment_fixed_size: 2048
    .kernarg_segment_align: 8
    .kernarg_segment_size: 16
    .language:       OpenCL C
    .language_version:
      - 2
      - 0
    .max_flat_workgroup_size: 256
    .name:           _Z6kernelI2upN15benchmark_utils11custom_typeIffEELj256ELj32ELj100EEvPKT0_PS4_
    .private_segment_fixed_size: 0
    .sgpr_count:     11
    .sgpr_spill_count: 0
    .symbol:         _Z6kernelI2upN15benchmark_utils11custom_typeIffEELj256ELj32ELj100EEvPKT0_PS4_.kd
    .uniform_work_group_size: 1
    .uses_dynamic_stack: false
    .vgpr_count:     70
    .vgpr_spill_count: 0
    .wavefront_size: 64
  - .agpr_count:     0
    .args:
      - .address_space:  global
        .offset:         0
        .size:           8
        .value_kind:     global_buffer
      - .address_space:  global
        .offset:         8
        .size:           8
        .value_kind:     global_buffer
    .group_segment_fixed_size: 4096
    .kernarg_segment_align: 8
    .kernarg_segment_size: 16
    .language:       OpenCL C
    .language_version:
      - 2
      - 0
    .max_flat_workgroup_size: 256
    .name:           _Z6kernelI2upN15benchmark_utils11custom_typeIddEELj256ELj1ELj100EEvPKT0_PS4_
    .private_segment_fixed_size: 0
    .sgpr_count:     11
    .sgpr_spill_count: 0
    .symbol:         _Z6kernelI2upN15benchmark_utils11custom_typeIddEELj256ELj1ELj100EEvPKT0_PS4_.kd
    .uniform_work_group_size: 1
    .uses_dynamic_stack: false
    .vgpr_count:     8
    .vgpr_spill_count: 0
    .wavefront_size: 64
  - .agpr_count:     0
    .args:
      - .address_space:  global
        .offset:         0
        .size:           8
        .value_kind:     global_buffer
      - .address_space:  global
        .offset:         8
        .size:           8
        .value_kind:     global_buffer
    .group_segment_fixed_size: 4096
    .kernarg_segment_align: 8
    .kernarg_segment_size: 16
    .language:       OpenCL C
    .language_version:
      - 2
      - 0
    .max_flat_workgroup_size: 256
    .name:           _Z6kernelI2upN15benchmark_utils11custom_typeIddEELj256ELj3ELj100EEvPKT0_PS4_
    .private_segment_fixed_size: 0
    .sgpr_count:     11
    .sgpr_spill_count: 0
    .symbol:         _Z6kernelI2upN15benchmark_utils11custom_typeIddEELj256ELj3ELj100EEvPKT0_PS4_.kd
    .uniform_work_group_size: 1
    .uses_dynamic_stack: false
    .vgpr_count:     24
    .vgpr_spill_count: 0
    .wavefront_size: 64
  - .agpr_count:     0
    .args:
      - .address_space:  global
        .offset:         0
        .size:           8
        .value_kind:     global_buffer
      - .address_space:  global
        .offset:         8
        .size:           8
        .value_kind:     global_buffer
    .group_segment_fixed_size: 4096
    .kernarg_segment_align: 8
    .kernarg_segment_size: 16
    .language:       OpenCL C
    .language_version:
      - 2
      - 0
    .max_flat_workgroup_size: 256
    .name:           _Z6kernelI2upN15benchmark_utils11custom_typeIddEELj256ELj4ELj100EEvPKT0_PS4_
    .private_segment_fixed_size: 0
    .sgpr_count:     11
    .sgpr_spill_count: 0
    .symbol:         _Z6kernelI2upN15benchmark_utils11custom_typeIddEELj256ELj4ELj100EEvPKT0_PS4_.kd
    .uniform_work_group_size: 1
    .uses_dynamic_stack: false
    .vgpr_count:     24
    .vgpr_spill_count: 0
    .wavefront_size: 64
  - .agpr_count:     0
    .args:
      - .address_space:  global
        .offset:         0
        .size:           8
        .value_kind:     global_buffer
      - .address_space:  global
        .offset:         8
        .size:           8
        .value_kind:     global_buffer
    .group_segment_fixed_size: 4096
    .kernarg_segment_align: 8
    .kernarg_segment_size: 16
    .language:       OpenCL C
    .language_version:
      - 2
      - 0
    .max_flat_workgroup_size: 256
    .name:           _Z6kernelI2upN15benchmark_utils11custom_typeIddEELj256ELj8ELj100EEvPKT0_PS4_
    .private_segment_fixed_size: 0
    .sgpr_count:     11
    .sgpr_spill_count: 0
    .symbol:         _Z6kernelI2upN15benchmark_utils11custom_typeIddEELj256ELj8ELj100EEvPKT0_PS4_.kd
    .uniform_work_group_size: 1
    .uses_dynamic_stack: false
    .vgpr_count:     40
    .vgpr_spill_count: 0
    .wavefront_size: 64
  - .agpr_count:     0
    .args:
      - .address_space:  global
        .offset:         0
        .size:           8
        .value_kind:     global_buffer
      - .address_space:  global
        .offset:         8
        .size:           8
        .value_kind:     global_buffer
    .group_segment_fixed_size: 4096
    .kernarg_segment_align: 8
    .kernarg_segment_size: 16
    .language:       OpenCL C
    .language_version:
      - 2
      - 0
    .max_flat_workgroup_size: 256
    .name:           _Z6kernelI2upN15benchmark_utils11custom_typeIddEELj256ELj16ELj100EEvPKT0_PS4_
    .private_segment_fixed_size: 0
    .sgpr_count:     11
    .sgpr_spill_count: 0
    .symbol:         _Z6kernelI2upN15benchmark_utils11custom_typeIddEELj256ELj16ELj100EEvPKT0_PS4_.kd
    .uniform_work_group_size: 1
    .uses_dynamic_stack: false
    .vgpr_count:     72
    .vgpr_spill_count: 0
    .wavefront_size: 64
  - .agpr_count:     0
    .args:
      - .address_space:  global
        .offset:         0
        .size:           8
        .value_kind:     global_buffer
      - .address_space:  global
        .offset:         8
        .size:           8
        .value_kind:     global_buffer
    .group_segment_fixed_size: 4096
    .kernarg_segment_align: 8
    .kernarg_segment_size: 16
    .language:       OpenCL C
    .language_version:
      - 2
      - 0
    .max_flat_workgroup_size: 256
    .name:           _Z6kernelI2upN15benchmark_utils11custom_typeIddEELj256ELj32ELj100EEvPKT0_PS4_
    .private_segment_fixed_size: 0
    .sgpr_count:     11
    .sgpr_spill_count: 0
    .symbol:         _Z6kernelI2upN15benchmark_utils11custom_typeIddEELj256ELj32ELj100EEvPKT0_PS4_.kd
    .uniform_work_group_size: 1
    .uses_dynamic_stack: false
    .vgpr_count:     136
    .vgpr_spill_count: 0
    .wavefront_size: 64
  - .agpr_count:     0
    .args:
      - .address_space:  global
        .offset:         0
        .size:           8
        .value_kind:     global_buffer
      - .address_space:  global
        .offset:         8
        .size:           8
        .value_kind:     global_buffer
    .group_segment_fixed_size: 1024
    .kernarg_segment_align: 8
    .kernarg_segment_size: 16
    .language:       OpenCL C
    .language_version:
      - 2
      - 0
    .max_flat_workgroup_size: 256
    .name:           _Z6kernelI4downiLj256ELj1ELj100EEvPKT0_PS1_
    .private_segment_fixed_size: 0
    .sgpr_count:     11
    .sgpr_spill_count: 0
    .symbol:         _Z6kernelI4downiLj256ELj1ELj100EEvPKT0_PS1_.kd
    .uniform_work_group_size: 1
    .uses_dynamic_stack: false
    .vgpr_count:     6
    .vgpr_spill_count: 0
    .wavefront_size: 64
  - .agpr_count:     0
    .args:
      - .address_space:  global
        .offset:         0
        .size:           8
        .value_kind:     global_buffer
      - .address_space:  global
        .offset:         8
        .size:           8
        .value_kind:     global_buffer
    .group_segment_fixed_size: 1024
    .kernarg_segment_align: 8
    .kernarg_segment_size: 16
    .language:       OpenCL C
    .language_version:
      - 2
      - 0
    .max_flat_workgroup_size: 256
    .name:           _Z6kernelI4downiLj256ELj3ELj100EEvPKT0_PS1_
    .private_segment_fixed_size: 0
    .sgpr_count:     11
    .sgpr_spill_count: 0
    .symbol:         _Z6kernelI4downiLj256ELj3ELj100EEvPKT0_PS1_.kd
    .uniform_work_group_size: 1
    .uses_dynamic_stack: false
    .vgpr_count:     18
    .vgpr_spill_count: 0
    .wavefront_size: 64
  - .agpr_count:     0
    .args:
      - .address_space:  global
        .offset:         0
        .size:           8
        .value_kind:     global_buffer
      - .address_space:  global
        .offset:         8
        .size:           8
        .value_kind:     global_buffer
    .group_segment_fixed_size: 1024
    .kernarg_segment_align: 8
    .kernarg_segment_size: 16
    .language:       OpenCL C
    .language_version:
      - 2
      - 0
    .max_flat_workgroup_size: 256
    .name:           _Z6kernelI4downiLj256ELj4ELj100EEvPKT0_PS1_
    .private_segment_fixed_size: 0
    .sgpr_count:     11
    .sgpr_spill_count: 0
    .symbol:         _Z6kernelI4downiLj256ELj4ELj100EEvPKT0_PS1_.kd
    .uniform_work_group_size: 1
    .uses_dynamic_stack: false
    .vgpr_count:     12
    .vgpr_spill_count: 0
    .wavefront_size: 64
  - .agpr_count:     0
    .args:
      - .address_space:  global
        .offset:         0
        .size:           8
        .value_kind:     global_buffer
      - .address_space:  global
        .offset:         8
        .size:           8
        .value_kind:     global_buffer
    .group_segment_fixed_size: 1024
    .kernarg_segment_align: 8
    .kernarg_segment_size: 16
    .language:       OpenCL C
    .language_version:
      - 2
      - 0
    .max_flat_workgroup_size: 256
    .name:           _Z6kernelI4downiLj256ELj8ELj100EEvPKT0_PS1_
    .private_segment_fixed_size: 0
    .sgpr_count:     11
    .sgpr_spill_count: 0
    .symbol:         _Z6kernelI4downiLj256ELj8ELj100EEvPKT0_PS1_.kd
    .uniform_work_group_size: 1
    .uses_dynamic_stack: false
    .vgpr_count:     16
    .vgpr_spill_count: 0
    .wavefront_size: 64
  - .agpr_count:     0
    .args:
      - .address_space:  global
        .offset:         0
        .size:           8
        .value_kind:     global_buffer
      - .address_space:  global
        .offset:         8
        .size:           8
        .value_kind:     global_buffer
    .group_segment_fixed_size: 1024
    .kernarg_segment_align: 8
    .kernarg_segment_size: 16
    .language:       OpenCL C
    .language_version:
      - 2
      - 0
    .max_flat_workgroup_size: 256
    .name:           _Z6kernelI4downiLj256ELj16ELj100EEvPKT0_PS1_
    .private_segment_fixed_size: 0
    .sgpr_count:     11
    .sgpr_spill_count: 0
    .symbol:         _Z6kernelI4downiLj256ELj16ELj100EEvPKT0_PS1_.kd
    .uniform_work_group_size: 1
    .uses_dynamic_stack: false
    .vgpr_count:     22
    .vgpr_spill_count: 0
    .wavefront_size: 64
  - .agpr_count:     0
    .args:
      - .address_space:  global
        .offset:         0
        .size:           8
        .value_kind:     global_buffer
      - .address_space:  global
        .offset:         8
        .size:           8
        .value_kind:     global_buffer
    .group_segment_fixed_size: 1024
    .kernarg_segment_align: 8
    .kernarg_segment_size: 16
    .language:       OpenCL C
    .language_version:
      - 2
      - 0
    .max_flat_workgroup_size: 256
    .name:           _Z6kernelI4downiLj256ELj32ELj100EEvPKT0_PS1_
    .private_segment_fixed_size: 0
    .sgpr_count:     11
    .sgpr_spill_count: 0
    .symbol:         _Z6kernelI4downiLj256ELj32ELj100EEvPKT0_PS1_.kd
    .uniform_work_group_size: 1
    .uses_dynamic_stack: false
    .vgpr_count:     40
    .vgpr_spill_count: 0
    .wavefront_size: 64
  - .agpr_count:     0
    .args:
      - .address_space:  global
        .offset:         0
        .size:           8
        .value_kind:     global_buffer
      - .address_space:  global
        .offset:         8
        .size:           8
        .value_kind:     global_buffer
    .group_segment_fixed_size: 1024
    .kernarg_segment_align: 8
    .kernarg_segment_size: 16
    .language:       OpenCL C
    .language_version:
      - 2
      - 0
    .max_flat_workgroup_size: 256
    .name:           _Z6kernelI4downfLj256ELj1ELj100EEvPKT0_PS1_
    .private_segment_fixed_size: 0
    .sgpr_count:     11
    .sgpr_spill_count: 0
    .symbol:         _Z6kernelI4downfLj256ELj1ELj100EEvPKT0_PS1_.kd
    .uniform_work_group_size: 1
    .uses_dynamic_stack: false
    .vgpr_count:     6
    .vgpr_spill_count: 0
    .wavefront_size: 64
  - .agpr_count:     0
    .args:
      - .address_space:  global
        .offset:         0
        .size:           8
        .value_kind:     global_buffer
      - .address_space:  global
        .offset:         8
        .size:           8
        .value_kind:     global_buffer
    .group_segment_fixed_size: 1024
    .kernarg_segment_align: 8
    .kernarg_segment_size: 16
    .language:       OpenCL C
    .language_version:
      - 2
      - 0
    .max_flat_workgroup_size: 256
    .name:           _Z6kernelI4downfLj256ELj3ELj100EEvPKT0_PS1_
    .private_segment_fixed_size: 0
    .sgpr_count:     11
    .sgpr_spill_count: 0
    .symbol:         _Z6kernelI4downfLj256ELj3ELj100EEvPKT0_PS1_.kd
    .uniform_work_group_size: 1
    .uses_dynamic_stack: false
    .vgpr_count:     18
    .vgpr_spill_count: 0
    .wavefront_size: 64
  - .agpr_count:     0
    .args:
      - .address_space:  global
        .offset:         0
        .size:           8
        .value_kind:     global_buffer
      - .address_space:  global
        .offset:         8
        .size:           8
        .value_kind:     global_buffer
    .group_segment_fixed_size: 1024
    .kernarg_segment_align: 8
    .kernarg_segment_size: 16
    .language:       OpenCL C
    .language_version:
      - 2
      - 0
    .max_flat_workgroup_size: 256
    .name:           _Z6kernelI4downfLj256ELj4ELj100EEvPKT0_PS1_
    .private_segment_fixed_size: 0
    .sgpr_count:     11
    .sgpr_spill_count: 0
    .symbol:         _Z6kernelI4downfLj256ELj4ELj100EEvPKT0_PS1_.kd
    .uniform_work_group_size: 1
    .uses_dynamic_stack: false
    .vgpr_count:     10
    .vgpr_spill_count: 0
    .wavefront_size: 64
  - .agpr_count:     0
    .args:
      - .address_space:  global
        .offset:         0
        .size:           8
        .value_kind:     global_buffer
      - .address_space:  global
        .offset:         8
        .size:           8
        .value_kind:     global_buffer
    .group_segment_fixed_size: 1024
    .kernarg_segment_align: 8
    .kernarg_segment_size: 16
    .language:       OpenCL C
    .language_version:
      - 2
      - 0
    .max_flat_workgroup_size: 256
    .name:           _Z6kernelI4downfLj256ELj8ELj100EEvPKT0_PS1_
    .private_segment_fixed_size: 0
    .sgpr_count:     11
    .sgpr_spill_count: 0
    .symbol:         _Z6kernelI4downfLj256ELj8ELj100EEvPKT0_PS1_.kd
    .uniform_work_group_size: 1
    .uses_dynamic_stack: false
    .vgpr_count:     16
    .vgpr_spill_count: 0
    .wavefront_size: 64
  - .agpr_count:     0
    .args:
      - .address_space:  global
        .offset:         0
        .size:           8
        .value_kind:     global_buffer
      - .address_space:  global
        .offset:         8
        .size:           8
        .value_kind:     global_buffer
    .group_segment_fixed_size: 1024
    .kernarg_segment_align: 8
    .kernarg_segment_size: 16
    .language:       OpenCL C
    .language_version:
      - 2
      - 0
    .max_flat_workgroup_size: 256
    .name:           _Z6kernelI4downfLj256ELj16ELj100EEvPKT0_PS1_
    .private_segment_fixed_size: 0
    .sgpr_count:     11
    .sgpr_spill_count: 0
    .symbol:         _Z6kernelI4downfLj256ELj16ELj100EEvPKT0_PS1_.kd
    .uniform_work_group_size: 1
    .uses_dynamic_stack: false
    .vgpr_count:     22
    .vgpr_spill_count: 0
    .wavefront_size: 64
  - .agpr_count:     0
    .args:
      - .address_space:  global
        .offset:         0
        .size:           8
        .value_kind:     global_buffer
      - .address_space:  global
        .offset:         8
        .size:           8
        .value_kind:     global_buffer
    .group_segment_fixed_size: 1024
    .kernarg_segment_align: 8
    .kernarg_segment_size: 16
    .language:       OpenCL C
    .language_version:
      - 2
      - 0
    .max_flat_workgroup_size: 256
    .name:           _Z6kernelI4downfLj256ELj32ELj100EEvPKT0_PS1_
    .private_segment_fixed_size: 0
    .sgpr_count:     11
    .sgpr_spill_count: 0
    .symbol:         _Z6kernelI4downfLj256ELj32ELj100EEvPKT0_PS1_.kd
    .uniform_work_group_size: 1
    .uses_dynamic_stack: false
    .vgpr_count:     40
    .vgpr_spill_count: 0
    .wavefront_size: 64
  - .agpr_count:     0
    .args:
      - .address_space:  global
        .offset:         0
        .size:           8
        .value_kind:     global_buffer
      - .address_space:  global
        .offset:         8
        .size:           8
        .value_kind:     global_buffer
    .group_segment_fixed_size: 2048
    .kernarg_segment_align: 8
    .kernarg_segment_size: 16
    .language:       OpenCL C
    .language_version:
      - 2
      - 0
    .max_flat_workgroup_size: 256
    .name:           _Z6kernelI4downdLj256ELj1ELj100EEvPKT0_PS1_
    .private_segment_fixed_size: 0
    .sgpr_count:     11
    .sgpr_spill_count: 0
    .symbol:         _Z6kernelI4downdLj256ELj1ELj100EEvPKT0_PS1_.kd
    .uniform_work_group_size: 1
    .uses_dynamic_stack: false
    .vgpr_count:     6
    .vgpr_spill_count: 0
    .wavefront_size: 64
  - .agpr_count:     0
    .args:
      - .address_space:  global
        .offset:         0
        .size:           8
        .value_kind:     global_buffer
      - .address_space:  global
        .offset:         8
        .size:           8
        .value_kind:     global_buffer
    .group_segment_fixed_size: 2048
    .kernarg_segment_align: 8
    .kernarg_segment_size: 16
    .language:       OpenCL C
    .language_version:
      - 2
      - 0
    .max_flat_workgroup_size: 256
    .name:           _Z6kernelI4downdLj256ELj3ELj100EEvPKT0_PS1_
    .private_segment_fixed_size: 0
    .sgpr_count:     11
    .sgpr_spill_count: 0
    .symbol:         _Z6kernelI4downdLj256ELj3ELj100EEvPKT0_PS1_.kd
    .uniform_work_group_size: 1
    .uses_dynamic_stack: false
    .vgpr_count:     20
    .vgpr_spill_count: 0
    .wavefront_size: 64
  - .agpr_count:     0
    .args:
      - .address_space:  global
        .offset:         0
        .size:           8
        .value_kind:     global_buffer
      - .address_space:  global
        .offset:         8
        .size:           8
        .value_kind:     global_buffer
    .group_segment_fixed_size: 2048
    .kernarg_segment_align: 8
    .kernarg_segment_size: 16
    .language:       OpenCL C
    .language_version:
      - 2
      - 0
    .max_flat_workgroup_size: 256
    .name:           _Z6kernelI4downdLj256ELj4ELj100EEvPKT0_PS1_
    .private_segment_fixed_size: 0
    .sgpr_count:     11
    .sgpr_spill_count: 0
    .symbol:         _Z6kernelI4downdLj256ELj4ELj100EEvPKT0_PS1_.kd
    .uniform_work_group_size: 1
    .uses_dynamic_stack: false
    .vgpr_count:     14
    .vgpr_spill_count: 0
    .wavefront_size: 64
  - .agpr_count:     0
    .args:
      - .address_space:  global
        .offset:         0
        .size:           8
        .value_kind:     global_buffer
      - .address_space:  global
        .offset:         8
        .size:           8
        .value_kind:     global_buffer
    .group_segment_fixed_size: 2048
    .kernarg_segment_align: 8
    .kernarg_segment_size: 16
    .language:       OpenCL C
    .language_version:
      - 2
      - 0
    .max_flat_workgroup_size: 256
    .name:           _Z6kernelI4downdLj256ELj8ELj100EEvPKT0_PS1_
    .private_segment_fixed_size: 0
    .sgpr_count:     11
    .sgpr_spill_count: 0
    .symbol:         _Z6kernelI4downdLj256ELj8ELj100EEvPKT0_PS1_.kd
    .uniform_work_group_size: 1
    .uses_dynamic_stack: false
    .vgpr_count:     22
    .vgpr_spill_count: 0
    .wavefront_size: 64
  - .agpr_count:     0
    .args:
      - .address_space:  global
        .offset:         0
        .size:           8
        .value_kind:     global_buffer
      - .address_space:  global
        .offset:         8
        .size:           8
        .value_kind:     global_buffer
    .group_segment_fixed_size: 2048
    .kernarg_segment_align: 8
    .kernarg_segment_size: 16
    .language:       OpenCL C
    .language_version:
      - 2
      - 0
    .max_flat_workgroup_size: 256
    .name:           _Z6kernelI4downdLj256ELj16ELj100EEvPKT0_PS1_
    .private_segment_fixed_size: 0
    .sgpr_count:     11
    .sgpr_spill_count: 0
    .symbol:         _Z6kernelI4downdLj256ELj16ELj100EEvPKT0_PS1_.kd
    .uniform_work_group_size: 1
    .uses_dynamic_stack: false
    .vgpr_count:     38
    .vgpr_spill_count: 0
    .wavefront_size: 64
  - .agpr_count:     0
    .args:
      - .address_space:  global
        .offset:         0
        .size:           8
        .value_kind:     global_buffer
      - .address_space:  global
        .offset:         8
        .size:           8
        .value_kind:     global_buffer
    .group_segment_fixed_size: 2048
    .kernarg_segment_align: 8
    .kernarg_segment_size: 16
    .language:       OpenCL C
    .language_version:
      - 2
      - 0
    .max_flat_workgroup_size: 256
    .name:           _Z6kernelI4downdLj256ELj32ELj100EEvPKT0_PS1_
    .private_segment_fixed_size: 0
    .sgpr_count:     11
    .sgpr_spill_count: 0
    .symbol:         _Z6kernelI4downdLj256ELj32ELj100EEvPKT0_PS1_.kd
    .uniform_work_group_size: 1
    .uses_dynamic_stack: false
    .vgpr_count:     70
    .vgpr_spill_count: 0
    .wavefront_size: 64
  - .agpr_count:     0
    .args:
      - .address_space:  global
        .offset:         0
        .size:           8
        .value_kind:     global_buffer
      - .address_space:  global
        .offset:         8
        .size:           8
        .value_kind:     global_buffer
    .group_segment_fixed_size: 256
    .kernarg_segment_align: 8
    .kernarg_segment_size: 16
    .language:       OpenCL C
    .language_version:
      - 2
      - 0
    .max_flat_workgroup_size: 256
    .name:           _Z6kernelI4downaLj256ELj1ELj100EEvPKT0_PS1_
    .private_segment_fixed_size: 0
    .sgpr_count:     11
    .sgpr_spill_count: 0
    .symbol:         _Z6kernelI4downaLj256ELj1ELj100EEvPKT0_PS1_.kd
    .uniform_work_group_size: 1
    .uses_dynamic_stack: false
    .vgpr_count:     4
    .vgpr_spill_count: 0
    .wavefront_size: 64
  - .agpr_count:     0
    .args:
      - .address_space:  global
        .offset:         0
        .size:           8
        .value_kind:     global_buffer
      - .address_space:  global
        .offset:         8
        .size:           8
        .value_kind:     global_buffer
    .group_segment_fixed_size: 256
    .kernarg_segment_align: 8
    .kernarg_segment_size: 16
    .language:       OpenCL C
    .language_version:
      - 2
      - 0
    .max_flat_workgroup_size: 256
    .name:           _Z6kernelI4downaLj256ELj3ELj100EEvPKT0_PS1_
    .private_segment_fixed_size: 0
    .sgpr_count:     11
    .sgpr_spill_count: 0
    .symbol:         _Z6kernelI4downaLj256ELj3ELj100EEvPKT0_PS1_.kd
    .uniform_work_group_size: 1
    .uses_dynamic_stack: false
    .vgpr_count:     8
    .vgpr_spill_count: 0
    .wavefront_size: 64
  - .agpr_count:     0
    .args:
      - .address_space:  global
        .offset:         0
        .size:           8
        .value_kind:     global_buffer
      - .address_space:  global
        .offset:         8
        .size:           8
        .value_kind:     global_buffer
    .group_segment_fixed_size: 256
    .kernarg_segment_align: 8
    .kernarg_segment_size: 16
    .language:       OpenCL C
    .language_version:
      - 2
      - 0
    .max_flat_workgroup_size: 256
    .name:           _Z6kernelI4downaLj256ELj4ELj100EEvPKT0_PS1_
    .private_segment_fixed_size: 0
    .sgpr_count:     11
    .sgpr_spill_count: 0
    .symbol:         _Z6kernelI4downaLj256ELj4ELj100EEvPKT0_PS1_.kd
    .uniform_work_group_size: 1
    .uses_dynamic_stack: false
    .vgpr_count:     4
    .vgpr_spill_count: 0
    .wavefront_size: 64
  - .agpr_count:     0
    .args:
      - .address_space:  global
        .offset:         0
        .size:           8
        .value_kind:     global_buffer
      - .address_space:  global
        .offset:         8
        .size:           8
        .value_kind:     global_buffer
    .group_segment_fixed_size: 256
    .kernarg_segment_align: 8
    .kernarg_segment_size: 16
    .language:       OpenCL C
    .language_version:
      - 2
      - 0
    .max_flat_workgroup_size: 256
    .name:           _Z6kernelI4downaLj256ELj8ELj100EEvPKT0_PS1_
    .private_segment_fixed_size: 0
    .sgpr_count:     13
    .sgpr_spill_count: 0
    .symbol:         _Z6kernelI4downaLj256ELj8ELj100EEvPKT0_PS1_.kd
    .uniform_work_group_size: 1
    .uses_dynamic_stack: false
    .vgpr_count:     5
    .vgpr_spill_count: 0
    .wavefront_size: 64
  - .agpr_count:     0
    .args:
      - .address_space:  global
        .offset:         0
        .size:           8
        .value_kind:     global_buffer
      - .address_space:  global
        .offset:         8
        .size:           8
        .value_kind:     global_buffer
    .group_segment_fixed_size: 256
    .kernarg_segment_align: 8
    .kernarg_segment_size: 16
    .language:       OpenCL C
    .language_version:
      - 2
      - 0
    .max_flat_workgroup_size: 256
    .name:           _Z6kernelI4downaLj256ELj16ELj100EEvPKT0_PS1_
    .private_segment_fixed_size: 0
    .sgpr_count:     13
    .sgpr_spill_count: 0
    .symbol:         _Z6kernelI4downaLj256ELj16ELj100EEvPKT0_PS1_.kd
    .uniform_work_group_size: 1
    .uses_dynamic_stack: false
    .vgpr_count:     8
    .vgpr_spill_count: 0
    .wavefront_size: 64
  - .agpr_count:     0
    .args:
      - .address_space:  global
        .offset:         0
        .size:           8
        .value_kind:     global_buffer
      - .address_space:  global
        .offset:         8
        .size:           8
        .value_kind:     global_buffer
    .group_segment_fixed_size: 256
    .kernarg_segment_align: 8
    .kernarg_segment_size: 16
    .language:       OpenCL C
    .language_version:
      - 2
      - 0
    .max_flat_workgroup_size: 256
    .name:           _Z6kernelI4downaLj256ELj32ELj100EEvPKT0_PS1_
    .private_segment_fixed_size: 0
    .sgpr_count:     11
    .sgpr_spill_count: 0
    .symbol:         _Z6kernelI4downaLj256ELj32ELj100EEvPKT0_PS1_.kd
    .uniform_work_group_size: 1
    .uses_dynamic_stack: false
    .vgpr_count:     26
    .vgpr_spill_count: 0
    .wavefront_size: 64
  - .agpr_count:     0
    .args:
      - .address_space:  global
        .offset:         0
        .size:           8
        .value_kind:     global_buffer
      - .address_space:  global
        .offset:         8
        .size:           8
        .value_kind:     global_buffer
    .group_segment_fixed_size: 2048
    .kernarg_segment_align: 8
    .kernarg_segment_size: 16
    .language:       OpenCL C
    .language_version:
      - 2
      - 0
    .max_flat_workgroup_size: 256
    .name:           _Z6kernelI4downxLj256ELj1ELj100EEvPKT0_PS1_
    .private_segment_fixed_size: 0
    .sgpr_count:     11
    .sgpr_spill_count: 0
    .symbol:         _Z6kernelI4downxLj256ELj1ELj100EEvPKT0_PS1_.kd
    .uniform_work_group_size: 1
    .uses_dynamic_stack: false
    .vgpr_count:     6
    .vgpr_spill_count: 0
    .wavefront_size: 64
  - .agpr_count:     0
    .args:
      - .address_space:  global
        .offset:         0
        .size:           8
        .value_kind:     global_buffer
      - .address_space:  global
        .offset:         8
        .size:           8
        .value_kind:     global_buffer
    .group_segment_fixed_size: 2048
    .kernarg_segment_align: 8
    .kernarg_segment_size: 16
    .language:       OpenCL C
    .language_version:
      - 2
      - 0
    .max_flat_workgroup_size: 256
    .name:           _Z6kernelI4downxLj256ELj3ELj100EEvPKT0_PS1_
    .private_segment_fixed_size: 0
    .sgpr_count:     11
    .sgpr_spill_count: 0
    .symbol:         _Z6kernelI4downxLj256ELj3ELj100EEvPKT0_PS1_.kd
    .uniform_work_group_size: 1
    .uses_dynamic_stack: false
    .vgpr_count:     20
    .vgpr_spill_count: 0
    .wavefront_size: 64
  - .agpr_count:     0
    .args:
      - .address_space:  global
        .offset:         0
        .size:           8
        .value_kind:     global_buffer
      - .address_space:  global
        .offset:         8
        .size:           8
        .value_kind:     global_buffer
    .group_segment_fixed_size: 2048
    .kernarg_segment_align: 8
    .kernarg_segment_size: 16
    .language:       OpenCL C
    .language_version:
      - 2
      - 0
    .max_flat_workgroup_size: 256
    .name:           _Z6kernelI4downxLj256ELj4ELj100EEvPKT0_PS1_
    .private_segment_fixed_size: 0
    .sgpr_count:     11
    .sgpr_spill_count: 0
    .symbol:         _Z6kernelI4downxLj256ELj4ELj100EEvPKT0_PS1_.kd
    .uniform_work_group_size: 1
    .uses_dynamic_stack: false
    .vgpr_count:     14
    .vgpr_spill_count: 0
    .wavefront_size: 64
  - .agpr_count:     0
    .args:
      - .address_space:  global
        .offset:         0
        .size:           8
        .value_kind:     global_buffer
      - .address_space:  global
        .offset:         8
        .size:           8
        .value_kind:     global_buffer
    .group_segment_fixed_size: 2048
    .kernarg_segment_align: 8
    .kernarg_segment_size: 16
    .language:       OpenCL C
    .language_version:
      - 2
      - 0
    .max_flat_workgroup_size: 256
    .name:           _Z6kernelI4downxLj256ELj8ELj100EEvPKT0_PS1_
    .private_segment_fixed_size: 0
    .sgpr_count:     11
    .sgpr_spill_count: 0
    .symbol:         _Z6kernelI4downxLj256ELj8ELj100EEvPKT0_PS1_.kd
    .uniform_work_group_size: 1
    .uses_dynamic_stack: false
    .vgpr_count:     22
    .vgpr_spill_count: 0
    .wavefront_size: 64
  - .agpr_count:     0
    .args:
      - .address_space:  global
        .offset:         0
        .size:           8
        .value_kind:     global_buffer
      - .address_space:  global
        .offset:         8
        .size:           8
        .value_kind:     global_buffer
    .group_segment_fixed_size: 2048
    .kernarg_segment_align: 8
    .kernarg_segment_size: 16
    .language:       OpenCL C
    .language_version:
      - 2
      - 0
    .max_flat_workgroup_size: 256
    .name:           _Z6kernelI4downxLj256ELj16ELj100EEvPKT0_PS1_
    .private_segment_fixed_size: 0
    .sgpr_count:     11
    .sgpr_spill_count: 0
    .symbol:         _Z6kernelI4downxLj256ELj16ELj100EEvPKT0_PS1_.kd
    .uniform_work_group_size: 1
    .uses_dynamic_stack: false
    .vgpr_count:     38
    .vgpr_spill_count: 0
    .wavefront_size: 64
  - .agpr_count:     0
    .args:
      - .address_space:  global
        .offset:         0
        .size:           8
        .value_kind:     global_buffer
      - .address_space:  global
        .offset:         8
        .size:           8
        .value_kind:     global_buffer
    .group_segment_fixed_size: 2048
    .kernarg_segment_align: 8
    .kernarg_segment_size: 16
    .language:       OpenCL C
    .language_version:
      - 2
      - 0
    .max_flat_workgroup_size: 256
    .name:           _Z6kernelI4downxLj256ELj32ELj100EEvPKT0_PS1_
    .private_segment_fixed_size: 0
    .sgpr_count:     11
    .sgpr_spill_count: 0
    .symbol:         _Z6kernelI4downxLj256ELj32ELj100EEvPKT0_PS1_.kd
    .uniform_work_group_size: 1
    .uses_dynamic_stack: false
    .vgpr_count:     70
    .vgpr_spill_count: 0
    .wavefront_size: 64
  - .agpr_count:     0
    .args:
      - .address_space:  global
        .offset:         0
        .size:           8
        .value_kind:     global_buffer
      - .address_space:  global
        .offset:         8
        .size:           8
        .value_kind:     global_buffer
    .group_segment_fixed_size: 2048
    .kernarg_segment_align: 8
    .kernarg_segment_size: 16
    .language:       OpenCL C
    .language_version:
      - 2
      - 0
    .max_flat_workgroup_size: 256
    .name:           _Z6kernelI4downN15benchmark_utils11custom_typeIffEELj256ELj1ELj100EEvPKT0_PS4_
    .private_segment_fixed_size: 0
    .sgpr_count:     11
    .sgpr_spill_count: 0
    .symbol:         _Z6kernelI4downN15benchmark_utils11custom_typeIffEELj256ELj1ELj100EEvPKT0_PS4_.kd
    .uniform_work_group_size: 1
    .uses_dynamic_stack: false
    .vgpr_count:     6
    .vgpr_spill_count: 0
    .wavefront_size: 64
  - .agpr_count:     0
    .args:
      - .address_space:  global
        .offset:         0
        .size:           8
        .value_kind:     global_buffer
      - .address_space:  global
        .offset:         8
        .size:           8
        .value_kind:     global_buffer
    .group_segment_fixed_size: 2048
    .kernarg_segment_align: 8
    .kernarg_segment_size: 16
    .language:       OpenCL C
    .language_version:
      - 2
      - 0
    .max_flat_workgroup_size: 256
    .name:           _Z6kernelI4downN15benchmark_utils11custom_typeIffEELj256ELj3ELj100EEvPKT0_PS4_
    .private_segment_fixed_size: 0
    .sgpr_count:     11
    .sgpr_spill_count: 0
    .symbol:         _Z6kernelI4downN15benchmark_utils11custom_typeIffEELj256ELj3ELj100EEvPKT0_PS4_.kd
    .uniform_work_group_size: 1
    .uses_dynamic_stack: false
    .vgpr_count:     20
    .vgpr_spill_count: 0
    .wavefront_size: 64
  - .agpr_count:     0
    .args:
      - .address_space:  global
        .offset:         0
        .size:           8
        .value_kind:     global_buffer
      - .address_space:  global
        .offset:         8
        .size:           8
        .value_kind:     global_buffer
    .group_segment_fixed_size: 2048
    .kernarg_segment_align: 8
    .kernarg_segment_size: 16
    .language:       OpenCL C
    .language_version:
      - 2
      - 0
    .max_flat_workgroup_size: 256
    .name:           _Z6kernelI4downN15benchmark_utils11custom_typeIffEELj256ELj4ELj100EEvPKT0_PS4_
    .private_segment_fixed_size: 0
    .sgpr_count:     11
    .sgpr_spill_count: 0
    .symbol:         _Z6kernelI4downN15benchmark_utils11custom_typeIffEELj256ELj4ELj100EEvPKT0_PS4_.kd
    .uniform_work_group_size: 1
    .uses_dynamic_stack: false
    .vgpr_count:     14
    .vgpr_spill_count: 0
    .wavefront_size: 64
  - .agpr_count:     0
    .args:
      - .address_space:  global
        .offset:         0
        .size:           8
        .value_kind:     global_buffer
      - .address_space:  global
        .offset:         8
        .size:           8
        .value_kind:     global_buffer
    .group_segment_fixed_size: 2048
    .kernarg_segment_align: 8
    .kernarg_segment_size: 16
    .language:       OpenCL C
    .language_version:
      - 2
      - 0
    .max_flat_workgroup_size: 256
    .name:           _Z6kernelI4downN15benchmark_utils11custom_typeIffEELj256ELj8ELj100EEvPKT0_PS4_
    .private_segment_fixed_size: 0
    .sgpr_count:     11
    .sgpr_spill_count: 0
    .symbol:         _Z6kernelI4downN15benchmark_utils11custom_typeIffEELj256ELj8ELj100EEvPKT0_PS4_.kd
    .uniform_work_group_size: 1
    .uses_dynamic_stack: false
    .vgpr_count:     22
    .vgpr_spill_count: 0
    .wavefront_size: 64
  - .agpr_count:     0
    .args:
      - .address_space:  global
        .offset:         0
        .size:           8
        .value_kind:     global_buffer
      - .address_space:  global
        .offset:         8
        .size:           8
        .value_kind:     global_buffer
    .group_segment_fixed_size: 2048
    .kernarg_segment_align: 8
    .kernarg_segment_size: 16
    .language:       OpenCL C
    .language_version:
      - 2
      - 0
    .max_flat_workgroup_size: 256
    .name:           _Z6kernelI4downN15benchmark_utils11custom_typeIffEELj256ELj16ELj100EEvPKT0_PS4_
    .private_segment_fixed_size: 0
    .sgpr_count:     11
    .sgpr_spill_count: 0
    .symbol:         _Z6kernelI4downN15benchmark_utils11custom_typeIffEELj256ELj16ELj100EEvPKT0_PS4_.kd
    .uniform_work_group_size: 1
    .uses_dynamic_stack: false
    .vgpr_count:     38
    .vgpr_spill_count: 0
    .wavefront_size: 64
  - .agpr_count:     0
    .args:
      - .address_space:  global
        .offset:         0
        .size:           8
        .value_kind:     global_buffer
      - .address_space:  global
        .offset:         8
        .size:           8
        .value_kind:     global_buffer
    .group_segment_fixed_size: 2048
    .kernarg_segment_align: 8
    .kernarg_segment_size: 16
    .language:       OpenCL C
    .language_version:
      - 2
      - 0
    .max_flat_workgroup_size: 256
    .name:           _Z6kernelI4downN15benchmark_utils11custom_typeIffEELj256ELj32ELj100EEvPKT0_PS4_
    .private_segment_fixed_size: 0
    .sgpr_count:     11
    .sgpr_spill_count: 0
    .symbol:         _Z6kernelI4downN15benchmark_utils11custom_typeIffEELj256ELj32ELj100EEvPKT0_PS4_.kd
    .uniform_work_group_size: 1
    .uses_dynamic_stack: false
    .vgpr_count:     70
    .vgpr_spill_count: 0
    .wavefront_size: 64
  - .agpr_count:     0
    .args:
      - .address_space:  global
        .offset:         0
        .size:           8
        .value_kind:     global_buffer
      - .address_space:  global
        .offset:         8
        .size:           8
        .value_kind:     global_buffer
    .group_segment_fixed_size: 4096
    .kernarg_segment_align: 8
    .kernarg_segment_size: 16
    .language:       OpenCL C
    .language_version:
      - 2
      - 0
    .max_flat_workgroup_size: 256
    .name:           _Z6kernelI4downN15benchmark_utils11custom_typeIddEELj256ELj1ELj100EEvPKT0_PS4_
    .private_segment_fixed_size: 0
    .sgpr_count:     11
    .sgpr_spill_count: 0
    .symbol:         _Z6kernelI4downN15benchmark_utils11custom_typeIddEELj256ELj1ELj100EEvPKT0_PS4_.kd
    .uniform_work_group_size: 1
    .uses_dynamic_stack: false
    .vgpr_count:     8
    .vgpr_spill_count: 0
    .wavefront_size: 64
  - .agpr_count:     0
    .args:
      - .address_space:  global
        .offset:         0
        .size:           8
        .value_kind:     global_buffer
      - .address_space:  global
        .offset:         8
        .size:           8
        .value_kind:     global_buffer
    .group_segment_fixed_size: 4096
    .kernarg_segment_align: 8
    .kernarg_segment_size: 16
    .language:       OpenCL C
    .language_version:
      - 2
      - 0
    .max_flat_workgroup_size: 256
    .name:           _Z6kernelI4downN15benchmark_utils11custom_typeIddEELj256ELj3ELj100EEvPKT0_PS4_
    .private_segment_fixed_size: 0
    .sgpr_count:     11
    .sgpr_spill_count: 0
    .symbol:         _Z6kernelI4downN15benchmark_utils11custom_typeIddEELj256ELj3ELj100EEvPKT0_PS4_.kd
    .uniform_work_group_size: 1
    .uses_dynamic_stack: false
    .vgpr_count:     24
    .vgpr_spill_count: 0
    .wavefront_size: 64
  - .agpr_count:     0
    .args:
      - .address_space:  global
        .offset:         0
        .size:           8
        .value_kind:     global_buffer
      - .address_space:  global
        .offset:         8
        .size:           8
        .value_kind:     global_buffer
    .group_segment_fixed_size: 4096
    .kernarg_segment_align: 8
    .kernarg_segment_size: 16
    .language:       OpenCL C
    .language_version:
      - 2
      - 0
    .max_flat_workgroup_size: 256
    .name:           _Z6kernelI4downN15benchmark_utils11custom_typeIddEELj256ELj4ELj100EEvPKT0_PS4_
    .private_segment_fixed_size: 0
    .sgpr_count:     11
    .sgpr_spill_count: 0
    .symbol:         _Z6kernelI4downN15benchmark_utils11custom_typeIddEELj256ELj4ELj100EEvPKT0_PS4_.kd
    .uniform_work_group_size: 1
    .uses_dynamic_stack: false
    .vgpr_count:     24
    .vgpr_spill_count: 0
    .wavefront_size: 64
  - .agpr_count:     0
    .args:
      - .address_space:  global
        .offset:         0
        .size:           8
        .value_kind:     global_buffer
      - .address_space:  global
        .offset:         8
        .size:           8
        .value_kind:     global_buffer
    .group_segment_fixed_size: 4096
    .kernarg_segment_align: 8
    .kernarg_segment_size: 16
    .language:       OpenCL C
    .language_version:
      - 2
      - 0
    .max_flat_workgroup_size: 256
    .name:           _Z6kernelI4downN15benchmark_utils11custom_typeIddEELj256ELj8ELj100EEvPKT0_PS4_
    .private_segment_fixed_size: 0
    .sgpr_count:     11
    .sgpr_spill_count: 0
    .symbol:         _Z6kernelI4downN15benchmark_utils11custom_typeIddEELj256ELj8ELj100EEvPKT0_PS4_.kd
    .uniform_work_group_size: 1
    .uses_dynamic_stack: false
    .vgpr_count:     40
    .vgpr_spill_count: 0
    .wavefront_size: 64
  - .agpr_count:     0
    .args:
      - .address_space:  global
        .offset:         0
        .size:           8
        .value_kind:     global_buffer
      - .address_space:  global
        .offset:         8
        .size:           8
        .value_kind:     global_buffer
    .group_segment_fixed_size: 4096
    .kernarg_segment_align: 8
    .kernarg_segment_size: 16
    .language:       OpenCL C
    .language_version:
      - 2
      - 0
    .max_flat_workgroup_size: 256
    .name:           _Z6kernelI4downN15benchmark_utils11custom_typeIddEELj256ELj16ELj100EEvPKT0_PS4_
    .private_segment_fixed_size: 0
    .sgpr_count:     11
    .sgpr_spill_count: 0
    .symbol:         _Z6kernelI4downN15benchmark_utils11custom_typeIddEELj256ELj16ELj100EEvPKT0_PS4_.kd
    .uniform_work_group_size: 1
    .uses_dynamic_stack: false
    .vgpr_count:     72
    .vgpr_spill_count: 0
    .wavefront_size: 64
  - .agpr_count:     0
    .args:
      - .address_space:  global
        .offset:         0
        .size:           8
        .value_kind:     global_buffer
      - .address_space:  global
        .offset:         8
        .size:           8
        .value_kind:     global_buffer
    .group_segment_fixed_size: 4096
    .kernarg_segment_align: 8
    .kernarg_segment_size: 16
    .language:       OpenCL C
    .language_version:
      - 2
      - 0
    .max_flat_workgroup_size: 256
    .name:           _Z6kernelI4downN15benchmark_utils11custom_typeIddEELj256ELj32ELj100EEvPKT0_PS4_
    .private_segment_fixed_size: 0
    .sgpr_count:     11
    .sgpr_spill_count: 0
    .symbol:         _Z6kernelI4downN15benchmark_utils11custom_typeIddEELj256ELj32ELj100EEvPKT0_PS4_.kd
    .uniform_work_group_size: 1
    .uses_dynamic_stack: false
    .vgpr_count:     136
    .vgpr_spill_count: 0
    .wavefront_size: 64
amdhsa.target:   amdgcn-amd-amdhsa--gfx90a
amdhsa.version:
  - 1
  - 2
...

	.end_amdgpu_metadata
